;; amdgpu-corpus repo=zjin-lcf/HeCBench kind=compiled arch=gfx906 opt=O3
	.amdgcn_target "amdgcn-amd-amdhsa--gfx906"
	.amdhsa_code_object_version 6
	.text
	.protected	_Z18processRwmanFaninsPiS_S_ii ; -- Begin function _Z18processRwmanFaninsPiS_S_ii
	.globl	_Z18processRwmanFaninsPiS_S_ii
	.p2align	8
	.type	_Z18processRwmanFaninsPiS_S_ii,@function
_Z18processRwmanFaninsPiS_S_ii:         ; @_Z18processRwmanFaninsPiS_S_ii
; %bb.0:
	s_load_dword s0, s[4:5], 0x2c
	s_load_dwordx2 s[8:9], s[4:5], 0x18
	s_waitcnt lgkmcnt(0)
	s_and_b32 s0, s0, 0xffff
	s_mul_i32 s6, s6, s0
	v_add_u32_e32 v0, s6, v0
	v_cmp_gt_i32_e32 vcc, s9, v0
	s_and_saveexec_b64 s[0:1], vcc
	s_cbranch_execz .LBB0_6
; %bb.1:
	s_load_dwordx4 s[0:3], s[4:5], 0x0
	s_load_dwordx2 s[6:7], s[4:5], 0x10
	v_add3_u32 v0, s8, 1, v0
	v_ashrrev_i32_e32 v1, 31, v0
	v_lshlrev_b64 v[2:3], 2, v[0:1]
	s_waitcnt lgkmcnt(0)
	v_mov_b32_e32 v1, s1
	v_add_co_u32_e32 v0, vcc, s0, v2
	v_addc_co_u32_e32 v1, vcc, v1, v3, vcc
	global_load_dword v4, v[0:1], off
	s_waitcnt vmcnt(0)
	v_cmp_gt_i32_e32 vcc, 2, v4
	s_and_saveexec_b64 s[0:1], vcc
	s_cbranch_execz .LBB0_3
; %bb.2:
	v_sub_u32_e32 v4, 1, v4
	global_store_dword v[0:1], v4, off
.LBB0_3:
	s_or_b64 exec, exec, s[0:1]
	v_mov_b32_e32 v5, s3
	v_add_co_u32_e32 v2, vcc, s2, v2
	v_addc_co_u32_e32 v3, vcc, v5, v3, vcc
	global_load_dword v5, v[2:3], off
	s_waitcnt vmcnt(0)
	v_cmp_gt_i32_e32 vcc, 2, v5
	s_and_saveexec_b64 s[0:1], vcc
	s_cbranch_execz .LBB0_5
; %bb.4:
	v_sub_u32_e32 v4, 1, v5
	global_store_dword v[2:3], v4, off
	global_load_dword v4, v[0:1], off
.LBB0_5:
	s_or_b64 exec, exec, s[0:1]
	s_waitcnt vmcnt(0)
	v_ashrrev_i32_e32 v0, 1, v4
	v_ashrrev_i32_e32 v1, 31, v0
	v_lshlrev_b64 v[0:1], 2, v[0:1]
	v_mov_b32_e32 v4, s7
	v_add_co_u32_e32 v0, vcc, s6, v0
	v_mov_b32_e32 v5, 1
	v_addc_co_u32_e32 v1, vcc, v4, v1, vcc
	global_atomic_add v[0:1], v5, off
	global_load_dword v0, v[2:3], off
	v_mov_b32_e32 v2, s7
	s_waitcnt vmcnt(0)
	v_ashrrev_i32_e32 v0, 1, v0
	v_ashrrev_i32_e32 v1, 31, v0
	v_lshlrev_b64 v[0:1], 2, v[0:1]
	v_add_co_u32_e32 v0, vcc, s6, v0
	v_addc_co_u32_e32 v1, vcc, v2, v1, vcc
	global_atomic_add v[0:1], v5, off
.LBB0_6:
	s_endpgm
	.section	.rodata,"a",@progbits
	.p2align	6, 0x0
	.amdhsa_kernel _Z18processRwmanFaninsPiS_S_ii
		.amdhsa_group_segment_fixed_size 0
		.amdhsa_private_segment_fixed_size 0
		.amdhsa_kernarg_size 288
		.amdhsa_user_sgpr_count 6
		.amdhsa_user_sgpr_private_segment_buffer 1
		.amdhsa_user_sgpr_dispatch_ptr 0
		.amdhsa_user_sgpr_queue_ptr 0
		.amdhsa_user_sgpr_kernarg_segment_ptr 1
		.amdhsa_user_sgpr_dispatch_id 0
		.amdhsa_user_sgpr_flat_scratch_init 0
		.amdhsa_user_sgpr_private_segment_size 0
		.amdhsa_uses_dynamic_stack 0
		.amdhsa_system_sgpr_private_segment_wavefront_offset 0
		.amdhsa_system_sgpr_workgroup_id_x 1
		.amdhsa_system_sgpr_workgroup_id_y 0
		.amdhsa_system_sgpr_workgroup_id_z 0
		.amdhsa_system_sgpr_workgroup_info 0
		.amdhsa_system_vgpr_workitem_id 0
		.amdhsa_next_free_vgpr 6
		.amdhsa_next_free_sgpr 10
		.amdhsa_reserve_vcc 1
		.amdhsa_reserve_flat_scratch 0
		.amdhsa_float_round_mode_32 0
		.amdhsa_float_round_mode_16_64 0
		.amdhsa_float_denorm_mode_32 3
		.amdhsa_float_denorm_mode_16_64 3
		.amdhsa_dx10_clamp 1
		.amdhsa_ieee_mode 1
		.amdhsa_fp16_overflow 0
		.amdhsa_exception_fp_ieee_invalid_op 0
		.amdhsa_exception_fp_denorm_src 0
		.amdhsa_exception_fp_ieee_div_zero 0
		.amdhsa_exception_fp_ieee_overflow 0
		.amdhsa_exception_fp_ieee_underflow 0
		.amdhsa_exception_fp_ieee_inexact 0
		.amdhsa_exception_int_div_zero 0
	.end_amdhsa_kernel
	.text
.Lfunc_end0:
	.size	_Z18processRwmanFaninsPiS_S_ii, .Lfunc_end0-_Z18processRwmanFaninsPiS_S_ii
                                        ; -- End function
	.set _Z18processRwmanFaninsPiS_S_ii.num_vgpr, 6
	.set _Z18processRwmanFaninsPiS_S_ii.num_agpr, 0
	.set _Z18processRwmanFaninsPiS_S_ii.numbered_sgpr, 10
	.set _Z18processRwmanFaninsPiS_S_ii.num_named_barrier, 0
	.set _Z18processRwmanFaninsPiS_S_ii.private_seg_size, 0
	.set _Z18processRwmanFaninsPiS_S_ii.uses_vcc, 1
	.set _Z18processRwmanFaninsPiS_S_ii.uses_flat_scratch, 0
	.set _Z18processRwmanFaninsPiS_S_ii.has_dyn_sized_stack, 0
	.set _Z18processRwmanFaninsPiS_S_ii.has_recursion, 0
	.set _Z18processRwmanFaninsPiS_S_ii.has_indirect_call, 0
	.section	.AMDGPU.csdata,"",@progbits
; Kernel info:
; codeLenInByte = 296
; TotalNumSgprs: 14
; NumVgprs: 6
; ScratchSize: 0
; MemoryBound: 0
; FloatMode: 240
; IeeeMode: 1
; LDSByteSize: 0 bytes/workgroup (compile time only)
; SGPRBlocks: 1
; VGPRBlocks: 1
; NumSGPRsForWavesPerEU: 14
; NumVGPRsForWavesPerEU: 6
; Occupancy: 10
; WaveLimiterHint : 1
; COMPUTE_PGM_RSRC2:SCRATCH_EN: 0
; COMPUTE_PGM_RSRC2:USER_SGPR: 6
; COMPUTE_PGM_RSRC2:TRAP_HANDLER: 0
; COMPUTE_PGM_RSRC2:TGID_X_EN: 1
; COMPUTE_PGM_RSRC2:TGID_Y_EN: 0
; COMPUTE_PGM_RSRC2:TGID_Z_EN: 0
; COMPUTE_PGM_RSRC2:TIDIG_COMP_CNT: 0
	.text
	.protected	_Z16processRwmanOutsPiS_i ; -- Begin function _Z16processRwmanOutsPiS_i
	.globl	_Z16processRwmanOutsPiS_i
	.p2align	8
	.type	_Z16processRwmanOutsPiS_i,@function
_Z16processRwmanOutsPiS_i:              ; @_Z16processRwmanOutsPiS_i
; %bb.0:
	s_load_dword s0, s[4:5], 0x24
	s_load_dword s1, s[4:5], 0x10
	s_waitcnt lgkmcnt(0)
	s_and_b32 s0, s0, 0xffff
	s_mul_i32 s6, s6, s0
	v_add_u32_e32 v0, s6, v0
	v_cmp_gt_i32_e32 vcc, s1, v0
	s_and_saveexec_b64 s[0:1], vcc
	s_cbranch_execz .LBB1_4
; %bb.1:
	s_load_dwordx4 s[0:3], s[4:5], 0x0
	v_ashrrev_i32_e32 v1, 31, v0
	v_lshlrev_b64 v[0:1], 2, v[0:1]
	s_waitcnt lgkmcnt(0)
	v_mov_b32_e32 v2, s1
	v_add_co_u32_e32 v0, vcc, s0, v0
	v_addc_co_u32_e32 v1, vcc, v2, v1, vcc
	global_load_dword v2, v[0:1], off
	s_waitcnt vmcnt(0)
	v_cmp_gt_i32_e32 vcc, 2, v2
	s_and_saveexec_b64 s[0:1], vcc
	s_cbranch_execz .LBB1_3
; %bb.2:
	v_sub_u32_e32 v2, 1, v2
	global_store_dword v[0:1], v2, off
.LBB1_3:
	s_or_b64 exec, exec, s[0:1]
	v_lshrrev_b32_e32 v0, 1, v2
	v_mov_b32_e32 v1, 0
	v_lshlrev_b64 v[0:1], 2, v[0:1]
	v_mov_b32_e32 v2, s3
	v_add_co_u32_e32 v0, vcc, s2, v0
	v_mov_b32_e32 v3, 1
	v_addc_co_u32_e32 v1, vcc, v2, v1, vcc
	global_atomic_add v[0:1], v3, off
.LBB1_4:
	s_endpgm
	.section	.rodata,"a",@progbits
	.p2align	6, 0x0
	.amdhsa_kernel _Z16processRwmanOutsPiS_i
		.amdhsa_group_segment_fixed_size 0
		.amdhsa_private_segment_fixed_size 0
		.amdhsa_kernarg_size 280
		.amdhsa_user_sgpr_count 6
		.amdhsa_user_sgpr_private_segment_buffer 1
		.amdhsa_user_sgpr_dispatch_ptr 0
		.amdhsa_user_sgpr_queue_ptr 0
		.amdhsa_user_sgpr_kernarg_segment_ptr 1
		.amdhsa_user_sgpr_dispatch_id 0
		.amdhsa_user_sgpr_flat_scratch_init 0
		.amdhsa_user_sgpr_private_segment_size 0
		.amdhsa_uses_dynamic_stack 0
		.amdhsa_system_sgpr_private_segment_wavefront_offset 0
		.amdhsa_system_sgpr_workgroup_id_x 1
		.amdhsa_system_sgpr_workgroup_id_y 0
		.amdhsa_system_sgpr_workgroup_id_z 0
		.amdhsa_system_sgpr_workgroup_info 0
		.amdhsa_system_vgpr_workitem_id 0
		.amdhsa_next_free_vgpr 4
		.amdhsa_next_free_sgpr 7
		.amdhsa_reserve_vcc 1
		.amdhsa_reserve_flat_scratch 0
		.amdhsa_float_round_mode_32 0
		.amdhsa_float_round_mode_16_64 0
		.amdhsa_float_denorm_mode_32 3
		.amdhsa_float_denorm_mode_16_64 3
		.amdhsa_dx10_clamp 1
		.amdhsa_ieee_mode 1
		.amdhsa_fp16_overflow 0
		.amdhsa_exception_fp_ieee_invalid_op 0
		.amdhsa_exception_fp_denorm_src 0
		.amdhsa_exception_fp_ieee_div_zero 0
		.amdhsa_exception_fp_ieee_overflow 0
		.amdhsa_exception_fp_ieee_underflow 0
		.amdhsa_exception_fp_ieee_inexact 0
		.amdhsa_exception_int_div_zero 0
	.end_amdhsa_kernel
	.text
.Lfunc_end1:
	.size	_Z16processRwmanOutsPiS_i, .Lfunc_end1-_Z16processRwmanOutsPiS_i
                                        ; -- End function
	.set _Z16processRwmanOutsPiS_i.num_vgpr, 4
	.set _Z16processRwmanOutsPiS_i.num_agpr, 0
	.set _Z16processRwmanOutsPiS_i.numbered_sgpr, 7
	.set _Z16processRwmanOutsPiS_i.num_named_barrier, 0
	.set _Z16processRwmanOutsPiS_i.private_seg_size, 0
	.set _Z16processRwmanOutsPiS_i.uses_vcc, 1
	.set _Z16processRwmanOutsPiS_i.uses_flat_scratch, 0
	.set _Z16processRwmanOutsPiS_i.has_dyn_sized_stack, 0
	.set _Z16processRwmanOutsPiS_i.has_recursion, 0
	.set _Z16processRwmanOutsPiS_i.has_indirect_call, 0
	.section	.AMDGPU.csdata,"",@progbits
; Kernel info:
; codeLenInByte = 168
; TotalNumSgprs: 11
; NumVgprs: 4
; ScratchSize: 0
; MemoryBound: 0
; FloatMode: 240
; IeeeMode: 1
; LDSByteSize: 0 bytes/workgroup (compile time only)
; SGPRBlocks: 1
; VGPRBlocks: 0
; NumSGPRsForWavesPerEU: 11
; NumVGPRsForWavesPerEU: 4
; Occupancy: 10
; WaveLimiterHint : 0
; COMPUTE_PGM_RSRC2:SCRATCH_EN: 0
; COMPUTE_PGM_RSRC2:USER_SGPR: 6
; COMPUTE_PGM_RSRC2:TRAP_HANDLER: 0
; COMPUTE_PGM_RSRC2:TGID_X_EN: 1
; COMPUTE_PGM_RSRC2:TGID_Y_EN: 0
; COMPUTE_PGM_RSRC2:TGID_Z_EN: 0
; COMPUTE_PGM_RSRC2:TIDIG_COMP_CNT: 0
	.text
	.p2align	2                               ; -- Begin function __ockl_printf_append_string_n
	.type	__ockl_printf_append_string_n,@function
__ockl_printf_append_string_n:          ; @__ockl_printf_append_string_n
; %bb.0:
	s_waitcnt vmcnt(0) expcnt(0) lgkmcnt(0)
	v_mov_b32_e32 v8, v3
	v_mov_b32_e32 v7, v2
                                        ; kill: def $vgpr1 killed $vgpr1 def $vgpr0
	v_or_b32_e32 v2, 2, v0
	v_cmp_eq_u32_e32 vcc, 0, v6
	v_cndmask_b32_e32 v3, v2, v0, vcc
	v_cmp_ne_u64_e32 vcc, 0, v[7:8]
	s_mov_b32 s22, 0
	s_mov_b64 s[6:7], 0
	v_mbcnt_lo_u32_b32 v2, -1, 0
	s_and_saveexec_b64 s[4:5], vcc
	s_xor_b64 s[10:11], exec, s[4:5]
	s_cbranch_execz .LBB2_86
; %bb.1:
	s_load_dwordx2 s[12:13], s[8:9], 0x50
	v_and_b32_e32 v6, 2, v3
	v_mov_b32_e32 v29, 0
	v_and_b32_e32 v0, -3, v3
	v_mbcnt_hi_u32_b32 v34, -1, v2
	s_movk_i32 s23, 0x1e0
	v_mov_b32_e32 v11, 2
	v_mov_b32_e32 v12, 1
	s_branch .LBB2_3
.LBB2_2:                                ;   in Loop: Header=BB2_3 Depth=1
	s_or_b64 exec, exec, s[16:17]
	v_sub_co_u32_e32 v4, vcc, v4, v30
	v_subb_co_u32_e32 v5, vcc, v5, v31, vcc
	v_cmp_eq_u64_e32 vcc, 0, v[4:5]
	s_or_b64 s[6:7], vcc, s[6:7]
	v_add_co_u32_e32 v7, vcc, v7, v30
	v_addc_co_u32_e32 v8, vcc, v8, v31, vcc
	s_andn2_b64 exec, exec, s[6:7]
	s_cbranch_execz .LBB2_85
.LBB2_3:                                ; =>This Loop Header: Depth=1
                                        ;     Child Loop BB2_6 Depth 2
                                        ;     Child Loop BB2_14 Depth 2
	;; [unrolled: 1-line block ×11, first 2 shown]
	v_cmp_gt_u64_e32 vcc, 56, v[4:5]
	v_add_co_u32_e64 v15, s[4:5], 8, v7
	v_cndmask_b32_e32 v31, 0, v5, vcc
	v_cndmask_b32_e32 v30, 56, v4, vcc
	v_cmp_gt_u64_e32 vcc, 8, v[4:5]
	v_addc_co_u32_e64 v16, s[4:5], 0, v8, s[4:5]
	s_and_saveexec_b64 s[4:5], vcc
	s_xor_b64 s[4:5], exec, s[4:5]
	s_cbranch_execz .LBB2_9
; %bb.4:                                ;   in Loop: Header=BB2_3 Depth=1
	v_mov_b32_e32 v2, 0
	v_cmp_ne_u64_e32 vcc, 0, v[4:5]
	v_mov_b32_e32 v3, 0
	s_and_saveexec_b64 s[14:15], vcc
	s_cbranch_execz .LBB2_8
; %bb.5:                                ;   in Loop: Header=BB2_3 Depth=1
	v_lshlrev_b64 v[9:10], 3, v[30:31]
	v_mov_b32_e32 v2, 0
	v_mov_b32_e32 v14, v8
	s_mov_b64 s[16:17], 0
	v_mov_b32_e32 v3, 0
	v_mov_b32_e32 v13, v7
	s_mov_b64 s[18:19], 0
.LBB2_6:                                ;   Parent Loop BB2_3 Depth=1
                                        ; =>  This Inner Loop Header: Depth=2
	flat_load_ubyte v10, v[13:14]
	v_mov_b32_e32 v16, s22
	v_add_co_u32_e32 v13, vcc, 1, v13
	v_addc_co_u32_e32 v14, vcc, 0, v14, vcc
	s_waitcnt vmcnt(0) lgkmcnt(0)
	v_and_b32_e32 v15, 0xffff, v10
	v_lshlrev_b64 v[15:16], s18, v[15:16]
	s_add_u32 s18, s18, 8
	s_addc_u32 s19, s19, 0
	v_cmp_eq_u32_e32 vcc, s18, v9
	v_or_b32_e32 v3, v16, v3
	s_or_b64 s[16:17], vcc, s[16:17]
	v_or_b32_e32 v2, v15, v2
	s_andn2_b64 exec, exec, s[16:17]
	s_cbranch_execnz .LBB2_6
; %bb.7:                                ;   in Loop: Header=BB2_3 Depth=1
	s_or_b64 exec, exec, s[16:17]
.LBB2_8:                                ;   in Loop: Header=BB2_3 Depth=1
	s_or_b64 exec, exec, s[14:15]
	v_mov_b32_e32 v16, v8
	v_mov_b32_e32 v15, v7
.LBB2_9:                                ;   in Loop: Header=BB2_3 Depth=1
	s_or_saveexec_b64 s[4:5], s[4:5]
	v_mov_b32_e32 v17, 0
	s_xor_b64 exec, exec, s[4:5]
	s_cbranch_execz .LBB2_11
; %bb.10:                               ;   in Loop: Header=BB2_3 Depth=1
	flat_load_dwordx2 v[2:3], v[7:8]
	v_add_u32_e32 v17, -8, v30
.LBB2_11:                               ;   in Loop: Header=BB2_3 Depth=1
	s_or_b64 exec, exec, s[4:5]
	v_add_co_u32_e64 v9, s[4:5], 8, v15
	v_cmp_gt_u32_e32 vcc, 8, v17
	v_addc_co_u32_e64 v10, s[4:5], 0, v16, s[4:5]
                                        ; implicit-def: $vgpr13_vgpr14
	s_and_saveexec_b64 s[4:5], vcc
	s_xor_b64 s[4:5], exec, s[4:5]
	s_cbranch_execz .LBB2_17
; %bb.12:                               ;   in Loop: Header=BB2_3 Depth=1
	v_mov_b32_e32 v13, 0
	v_mov_b32_e32 v14, 0
	v_cmp_ne_u32_e32 vcc, 0, v17
	s_and_saveexec_b64 s[14:15], vcc
	s_cbranch_execz .LBB2_16
; %bb.13:                               ;   in Loop: Header=BB2_3 Depth=1
	v_mov_b32_e32 v13, 0
	s_mov_b64 s[16:17], 0
	v_mov_b32_e32 v14, 0
	s_mov_b64 s[18:19], 0
	s_mov_b64 s[20:21], 0
.LBB2_14:                               ;   Parent Loop BB2_3 Depth=1
                                        ; =>  This Inner Loop Header: Depth=2
	v_mov_b32_e32 v10, s21
	v_add_co_u32_e32 v9, vcc, s20, v15
	v_addc_co_u32_e32 v10, vcc, v16, v10, vcc
	flat_load_ubyte v9, v[9:10]
	s_add_u32 s20, s20, 1
	v_mov_b32_e32 v10, s22
	s_addc_u32 s21, s21, 0
	v_cmp_eq_u32_e32 vcc, s20, v17
	s_waitcnt vmcnt(0) lgkmcnt(0)
	v_and_b32_e32 v9, 0xffff, v9
	v_lshlrev_b64 v[9:10], s18, v[9:10]
	s_add_u32 s18, s18, 8
	s_addc_u32 s19, s19, 0
	v_or_b32_e32 v14, v10, v14
	s_or_b64 s[16:17], vcc, s[16:17]
	v_or_b32_e32 v13, v9, v13
	s_andn2_b64 exec, exec, s[16:17]
	s_cbranch_execnz .LBB2_14
; %bb.15:                               ;   in Loop: Header=BB2_3 Depth=1
	s_or_b64 exec, exec, s[16:17]
.LBB2_16:                               ;   in Loop: Header=BB2_3 Depth=1
	s_or_b64 exec, exec, s[14:15]
	v_mov_b32_e32 v9, v15
	v_mov_b32_e32 v10, v16
                                        ; implicit-def: $vgpr17
.LBB2_17:                               ;   in Loop: Header=BB2_3 Depth=1
	s_or_saveexec_b64 s[4:5], s[4:5]
	v_mov_b32_e32 v18, 0
	s_xor_b64 exec, exec, s[4:5]
	s_cbranch_execz .LBB2_19
; %bb.18:                               ;   in Loop: Header=BB2_3 Depth=1
	flat_load_dwordx2 v[13:14], v[15:16]
	v_add_u32_e32 v18, -8, v17
.LBB2_19:                               ;   in Loop: Header=BB2_3 Depth=1
	s_or_b64 exec, exec, s[4:5]
	v_add_co_u32_e64 v19, s[4:5], 8, v9
	v_cmp_gt_u32_e32 vcc, 8, v18
	v_addc_co_u32_e64 v20, s[4:5], 0, v10, s[4:5]
	s_and_saveexec_b64 s[4:5], vcc
	s_xor_b64 s[4:5], exec, s[4:5]
	s_cbranch_execz .LBB2_25
; %bb.20:                               ;   in Loop: Header=BB2_3 Depth=1
	v_mov_b32_e32 v15, 0
	v_mov_b32_e32 v16, 0
	v_cmp_ne_u32_e32 vcc, 0, v18
	s_and_saveexec_b64 s[14:15], vcc
	s_cbranch_execz .LBB2_24
; %bb.21:                               ;   in Loop: Header=BB2_3 Depth=1
	v_mov_b32_e32 v15, 0
	s_mov_b64 s[16:17], 0
	v_mov_b32_e32 v16, 0
	s_mov_b64 s[18:19], 0
	s_mov_b64 s[20:21], 0
.LBB2_22:                               ;   Parent Loop BB2_3 Depth=1
                                        ; =>  This Inner Loop Header: Depth=2
	v_mov_b32_e32 v17, s21
	v_add_co_u32_e32 v19, vcc, s20, v9
	v_addc_co_u32_e32 v20, vcc, v10, v17, vcc
	flat_load_ubyte v17, v[19:20]
	s_add_u32 s20, s20, 1
	v_mov_b32_e32 v20, s22
	s_addc_u32 s21, s21, 0
	v_cmp_eq_u32_e32 vcc, s20, v18
	s_waitcnt vmcnt(0) lgkmcnt(0)
	v_and_b32_e32 v19, 0xffff, v17
	v_lshlrev_b64 v[19:20], s18, v[19:20]
	s_add_u32 s18, s18, 8
	s_addc_u32 s19, s19, 0
	v_or_b32_e32 v16, v20, v16
	s_or_b64 s[16:17], vcc, s[16:17]
	v_or_b32_e32 v15, v19, v15
	s_andn2_b64 exec, exec, s[16:17]
	s_cbranch_execnz .LBB2_22
; %bb.23:                               ;   in Loop: Header=BB2_3 Depth=1
	s_or_b64 exec, exec, s[16:17]
.LBB2_24:                               ;   in Loop: Header=BB2_3 Depth=1
	s_or_b64 exec, exec, s[14:15]
	v_mov_b32_e32 v20, v10
	v_mov_b32_e32 v19, v9
                                        ; implicit-def: $vgpr18
.LBB2_25:                               ;   in Loop: Header=BB2_3 Depth=1
	s_or_saveexec_b64 s[4:5], s[4:5]
	v_mov_b32_e32 v21, 0
	s_xor_b64 exec, exec, s[4:5]
	s_cbranch_execz .LBB2_27
; %bb.26:                               ;   in Loop: Header=BB2_3 Depth=1
	flat_load_dwordx2 v[15:16], v[9:10]
	v_add_u32_e32 v21, -8, v18
.LBB2_27:                               ;   in Loop: Header=BB2_3 Depth=1
	s_or_b64 exec, exec, s[4:5]
	v_add_co_u32_e64 v9, s[4:5], 8, v19
	v_cmp_gt_u32_e32 vcc, 8, v21
	v_addc_co_u32_e64 v10, s[4:5], 0, v20, s[4:5]
                                        ; implicit-def: $vgpr17_vgpr18
	s_and_saveexec_b64 s[4:5], vcc
	s_xor_b64 s[4:5], exec, s[4:5]
	s_cbranch_execz .LBB2_33
; %bb.28:                               ;   in Loop: Header=BB2_3 Depth=1
	v_mov_b32_e32 v17, 0
	v_mov_b32_e32 v18, 0
	v_cmp_ne_u32_e32 vcc, 0, v21
	s_and_saveexec_b64 s[14:15], vcc
	s_cbranch_execz .LBB2_32
; %bb.29:                               ;   in Loop: Header=BB2_3 Depth=1
	v_mov_b32_e32 v17, 0
	s_mov_b64 s[16:17], 0
	v_mov_b32_e32 v18, 0
	s_mov_b64 s[18:19], 0
	s_mov_b64 s[20:21], 0
.LBB2_30:                               ;   Parent Loop BB2_3 Depth=1
                                        ; =>  This Inner Loop Header: Depth=2
	v_mov_b32_e32 v10, s21
	v_add_co_u32_e32 v9, vcc, s20, v19
	v_addc_co_u32_e32 v10, vcc, v20, v10, vcc
	flat_load_ubyte v9, v[9:10]
	s_add_u32 s20, s20, 1
	v_mov_b32_e32 v10, s22
	s_addc_u32 s21, s21, 0
	v_cmp_eq_u32_e32 vcc, s20, v21
	s_waitcnt vmcnt(0) lgkmcnt(0)
	v_and_b32_e32 v9, 0xffff, v9
	v_lshlrev_b64 v[9:10], s18, v[9:10]
	s_add_u32 s18, s18, 8
	s_addc_u32 s19, s19, 0
	v_or_b32_e32 v18, v10, v18
	s_or_b64 s[16:17], vcc, s[16:17]
	v_or_b32_e32 v17, v9, v17
	s_andn2_b64 exec, exec, s[16:17]
	s_cbranch_execnz .LBB2_30
; %bb.31:                               ;   in Loop: Header=BB2_3 Depth=1
	s_or_b64 exec, exec, s[16:17]
.LBB2_32:                               ;   in Loop: Header=BB2_3 Depth=1
	s_or_b64 exec, exec, s[14:15]
	v_mov_b32_e32 v9, v19
	v_mov_b32_e32 v10, v20
                                        ; implicit-def: $vgpr21
.LBB2_33:                               ;   in Loop: Header=BB2_3 Depth=1
	s_or_saveexec_b64 s[4:5], s[4:5]
	v_mov_b32_e32 v22, 0
	s_xor_b64 exec, exec, s[4:5]
	s_cbranch_execz .LBB2_35
; %bb.34:                               ;   in Loop: Header=BB2_3 Depth=1
	flat_load_dwordx2 v[17:18], v[19:20]
	v_add_u32_e32 v22, -8, v21
.LBB2_35:                               ;   in Loop: Header=BB2_3 Depth=1
	s_or_b64 exec, exec, s[4:5]
	v_add_co_u32_e64 v23, s[4:5], 8, v9
	v_cmp_gt_u32_e32 vcc, 8, v22
	v_addc_co_u32_e64 v24, s[4:5], 0, v10, s[4:5]
	s_and_saveexec_b64 s[4:5], vcc
	s_xor_b64 s[4:5], exec, s[4:5]
	s_cbranch_execz .LBB2_41
; %bb.36:                               ;   in Loop: Header=BB2_3 Depth=1
	v_mov_b32_e32 v19, 0
	v_mov_b32_e32 v20, 0
	v_cmp_ne_u32_e32 vcc, 0, v22
	s_and_saveexec_b64 s[14:15], vcc
	s_cbranch_execz .LBB2_40
; %bb.37:                               ;   in Loop: Header=BB2_3 Depth=1
	v_mov_b32_e32 v19, 0
	s_mov_b64 s[16:17], 0
	v_mov_b32_e32 v20, 0
	s_mov_b64 s[18:19], 0
	s_mov_b64 s[20:21], 0
.LBB2_38:                               ;   Parent Loop BB2_3 Depth=1
                                        ; =>  This Inner Loop Header: Depth=2
	v_mov_b32_e32 v21, s21
	v_add_co_u32_e32 v23, vcc, s20, v9
	v_addc_co_u32_e32 v24, vcc, v10, v21, vcc
	flat_load_ubyte v21, v[23:24]
	s_add_u32 s20, s20, 1
	v_mov_b32_e32 v24, s22
	s_addc_u32 s21, s21, 0
	v_cmp_eq_u32_e32 vcc, s20, v22
	s_waitcnt vmcnt(0) lgkmcnt(0)
	v_and_b32_e32 v23, 0xffff, v21
	v_lshlrev_b64 v[23:24], s18, v[23:24]
	s_add_u32 s18, s18, 8
	s_addc_u32 s19, s19, 0
	v_or_b32_e32 v20, v24, v20
	s_or_b64 s[16:17], vcc, s[16:17]
	v_or_b32_e32 v19, v23, v19
	s_andn2_b64 exec, exec, s[16:17]
	s_cbranch_execnz .LBB2_38
; %bb.39:                               ;   in Loop: Header=BB2_3 Depth=1
	s_or_b64 exec, exec, s[16:17]
.LBB2_40:                               ;   in Loop: Header=BB2_3 Depth=1
	s_or_b64 exec, exec, s[14:15]
	v_mov_b32_e32 v24, v10
	v_mov_b32_e32 v23, v9
                                        ; implicit-def: $vgpr22
.LBB2_41:                               ;   in Loop: Header=BB2_3 Depth=1
	s_or_saveexec_b64 s[4:5], s[4:5]
	v_mov_b32_e32 v25, 0
	s_xor_b64 exec, exec, s[4:5]
	s_cbranch_execz .LBB2_43
; %bb.42:                               ;   in Loop: Header=BB2_3 Depth=1
	flat_load_dwordx2 v[19:20], v[9:10]
	v_add_u32_e32 v25, -8, v22
.LBB2_43:                               ;   in Loop: Header=BB2_3 Depth=1
	s_or_b64 exec, exec, s[4:5]
	v_add_co_u32_e64 v9, s[4:5], 8, v23
	v_cmp_gt_u32_e32 vcc, 8, v25
	v_addc_co_u32_e64 v10, s[4:5], 0, v24, s[4:5]
                                        ; implicit-def: $vgpr21_vgpr22
	s_and_saveexec_b64 s[4:5], vcc
	s_xor_b64 s[4:5], exec, s[4:5]
	s_cbranch_execz .LBB2_49
; %bb.44:                               ;   in Loop: Header=BB2_3 Depth=1
	v_mov_b32_e32 v21, 0
	v_mov_b32_e32 v22, 0
	v_cmp_ne_u32_e32 vcc, 0, v25
	s_and_saveexec_b64 s[14:15], vcc
	s_cbranch_execz .LBB2_48
; %bb.45:                               ;   in Loop: Header=BB2_3 Depth=1
	v_mov_b32_e32 v21, 0
	s_mov_b64 s[16:17], 0
	v_mov_b32_e32 v22, 0
	s_mov_b64 s[18:19], 0
	s_mov_b64 s[20:21], 0
.LBB2_46:                               ;   Parent Loop BB2_3 Depth=1
                                        ; =>  This Inner Loop Header: Depth=2
	v_mov_b32_e32 v10, s21
	v_add_co_u32_e32 v9, vcc, s20, v23
	v_addc_co_u32_e32 v10, vcc, v24, v10, vcc
	flat_load_ubyte v9, v[9:10]
	s_add_u32 s20, s20, 1
	v_mov_b32_e32 v10, s22
	s_addc_u32 s21, s21, 0
	v_cmp_eq_u32_e32 vcc, s20, v25
	s_waitcnt vmcnt(0) lgkmcnt(0)
	v_and_b32_e32 v9, 0xffff, v9
	v_lshlrev_b64 v[9:10], s18, v[9:10]
	s_add_u32 s18, s18, 8
	s_addc_u32 s19, s19, 0
	v_or_b32_e32 v22, v10, v22
	s_or_b64 s[16:17], vcc, s[16:17]
	v_or_b32_e32 v21, v9, v21
	s_andn2_b64 exec, exec, s[16:17]
	s_cbranch_execnz .LBB2_46
; %bb.47:                               ;   in Loop: Header=BB2_3 Depth=1
	s_or_b64 exec, exec, s[16:17]
.LBB2_48:                               ;   in Loop: Header=BB2_3 Depth=1
	s_or_b64 exec, exec, s[14:15]
	v_mov_b32_e32 v9, v23
	v_mov_b32_e32 v10, v24
                                        ; implicit-def: $vgpr25
.LBB2_49:                               ;   in Loop: Header=BB2_3 Depth=1
	s_or_saveexec_b64 s[4:5], s[4:5]
	v_mov_b32_e32 v26, 0
	s_xor_b64 exec, exec, s[4:5]
	s_cbranch_execz .LBB2_51
; %bb.50:                               ;   in Loop: Header=BB2_3 Depth=1
	flat_load_dwordx2 v[21:22], v[23:24]
	v_add_u32_e32 v26, -8, v25
.LBB2_51:                               ;   in Loop: Header=BB2_3 Depth=1
	s_or_b64 exec, exec, s[4:5]
	v_cmp_gt_u32_e32 vcc, 8, v26
	s_and_saveexec_b64 s[4:5], vcc
	s_xor_b64 s[4:5], exec, s[4:5]
	s_cbranch_execz .LBB2_57
; %bb.52:                               ;   in Loop: Header=BB2_3 Depth=1
	v_mov_b32_e32 v23, 0
	v_mov_b32_e32 v24, 0
	v_cmp_ne_u32_e32 vcc, 0, v26
	s_and_saveexec_b64 s[14:15], vcc
	s_cbranch_execz .LBB2_56
; %bb.53:                               ;   in Loop: Header=BB2_3 Depth=1
	v_mov_b32_e32 v23, 0
	s_mov_b64 s[16:17], 0
	v_mov_b32_e32 v24, 0
	s_mov_b64 s[18:19], 0
.LBB2_54:                               ;   Parent Loop BB2_3 Depth=1
                                        ; =>  This Inner Loop Header: Depth=2
	flat_load_ubyte v25, v[9:10]
	v_mov_b32_e32 v28, s22
	v_add_co_u32_e32 v9, vcc, 1, v9
	v_add_u32_e32 v26, -1, v26
	v_addc_co_u32_e32 v10, vcc, 0, v10, vcc
	v_cmp_eq_u32_e32 vcc, 0, v26
	s_waitcnt vmcnt(0) lgkmcnt(0)
	v_and_b32_e32 v27, 0xffff, v25
	v_lshlrev_b64 v[27:28], s18, v[27:28]
	s_add_u32 s18, s18, 8
	s_addc_u32 s19, s19, 0
	v_or_b32_e32 v24, v28, v24
	s_or_b64 s[16:17], vcc, s[16:17]
	v_or_b32_e32 v23, v27, v23
	s_andn2_b64 exec, exec, s[16:17]
	s_cbranch_execnz .LBB2_54
; %bb.55:                               ;   in Loop: Header=BB2_3 Depth=1
	s_or_b64 exec, exec, s[16:17]
.LBB2_56:                               ;   in Loop: Header=BB2_3 Depth=1
	s_or_b64 exec, exec, s[14:15]
                                        ; implicit-def: $vgpr9_vgpr10
.LBB2_57:                               ;   in Loop: Header=BB2_3 Depth=1
	s_andn2_saveexec_b64 s[4:5], s[4:5]
	s_cbranch_execz .LBB2_59
; %bb.58:                               ;   in Loop: Header=BB2_3 Depth=1
	flat_load_dwordx2 v[23:24], v[9:10]
.LBB2_59:                               ;   in Loop: Header=BB2_3 Depth=1
	s_or_b64 exec, exec, s[4:5]
	v_readfirstlane_b32 s4, v34
	v_mov_b32_e32 v9, 0
	v_mov_b32_e32 v10, 0
	v_cmp_eq_u32_e64 s[4:5], s4, v34
	s_and_saveexec_b64 s[14:15], s[4:5]
	s_cbranch_execz .LBB2_65
; %bb.60:                               ;   in Loop: Header=BB2_3 Depth=1
	s_waitcnt lgkmcnt(0)
	global_load_dwordx2 v[27:28], v29, s[12:13] offset:24 glc
	s_waitcnt vmcnt(0)
	buffer_wbinvl1_vol
	global_load_dwordx2 v[9:10], v29, s[12:13] offset:40
	global_load_dwordx2 v[25:26], v29, s[12:13]
	s_waitcnt vmcnt(1)
	v_and_b32_e32 v9, v9, v27
	v_and_b32_e32 v10, v10, v28
	v_mul_lo_u32 v10, v10, 24
	v_mul_hi_u32 v32, v9, 24
	v_mul_lo_u32 v9, v9, 24
	v_add_u32_e32 v10, v32, v10
	s_waitcnt vmcnt(0)
	v_add_co_u32_e32 v9, vcc, v25, v9
	v_addc_co_u32_e32 v10, vcc, v26, v10, vcc
	global_load_dwordx2 v[25:26], v[9:10], off glc
	s_waitcnt vmcnt(0)
	global_atomic_cmpswap_x2 v[9:10], v29, v[25:28], s[12:13] offset:24 glc
	s_waitcnt vmcnt(0)
	buffer_wbinvl1_vol
	v_cmp_ne_u64_e32 vcc, v[9:10], v[27:28]
	s_and_saveexec_b64 s[16:17], vcc
	s_cbranch_execz .LBB2_64
; %bb.61:                               ;   in Loop: Header=BB2_3 Depth=1
	s_mov_b64 s[18:19], 0
.LBB2_62:                               ;   Parent Loop BB2_3 Depth=1
                                        ; =>  This Inner Loop Header: Depth=2
	s_sleep 1
	global_load_dwordx2 v[25:26], v29, s[12:13] offset:40
	global_load_dwordx2 v[32:33], v29, s[12:13]
	v_mov_b32_e32 v28, v10
	v_mov_b32_e32 v27, v9
	s_waitcnt vmcnt(1)
	v_and_b32_e32 v9, v25, v27
	s_waitcnt vmcnt(0)
	v_mad_u64_u32 v[9:10], s[20:21], v9, 24, v[32:33]
	v_and_b32_e32 v25, v26, v28
	v_mad_u64_u32 v[25:26], s[20:21], v25, 24, v[10:11]
	v_mov_b32_e32 v10, v25
	global_load_dwordx2 v[25:26], v[9:10], off glc
	s_waitcnt vmcnt(0)
	global_atomic_cmpswap_x2 v[9:10], v29, v[25:28], s[12:13] offset:24 glc
	s_waitcnt vmcnt(0)
	buffer_wbinvl1_vol
	v_cmp_eq_u64_e32 vcc, v[9:10], v[27:28]
	s_or_b64 s[18:19], vcc, s[18:19]
	s_andn2_b64 exec, exec, s[18:19]
	s_cbranch_execnz .LBB2_62
; %bb.63:                               ;   in Loop: Header=BB2_3 Depth=1
	s_or_b64 exec, exec, s[18:19]
.LBB2_64:                               ;   in Loop: Header=BB2_3 Depth=1
	s_or_b64 exec, exec, s[16:17]
.LBB2_65:                               ;   in Loop: Header=BB2_3 Depth=1
	s_or_b64 exec, exec, s[14:15]
	s_waitcnt lgkmcnt(0)
	global_load_dwordx2 v[32:33], v29, s[12:13] offset:40
	global_load_dwordx4 v[25:28], v29, s[12:13]
	v_readfirstlane_b32 s15, v10
	v_readfirstlane_b32 s14, v9
	s_mov_b64 s[16:17], exec
	s_waitcnt vmcnt(0)
	v_readfirstlane_b32 s18, v32
	v_readfirstlane_b32 s19, v33
	s_and_b64 s[18:19], s[18:19], s[14:15]
	s_mul_i32 s20, s19, 24
	s_mul_hi_u32 s21, s18, 24
	s_mul_i32 s24, s18, 24
	s_add_i32 s20, s21, s20
	v_mov_b32_e32 v9, s20
	v_add_co_u32_e32 v32, vcc, s24, v25
	v_addc_co_u32_e32 v33, vcc, v26, v9, vcc
	s_and_saveexec_b64 s[20:21], s[4:5]
	s_cbranch_execz .LBB2_67
; %bb.66:                               ;   in Loop: Header=BB2_3 Depth=1
	v_mov_b32_e32 v9, s16
	v_mov_b32_e32 v10, s17
	global_store_dwordx4 v[32:33], v[9:12], off offset:8
.LBB2_67:                               ;   in Loop: Header=BB2_3 Depth=1
	s_or_b64 exec, exec, s[20:21]
	s_lshl_b64 s[16:17], s[18:19], 12
	v_mov_b32_e32 v9, s17
	v_add_co_u32_e32 v27, vcc, s16, v27
	v_addc_co_u32_e32 v35, vcc, v28, v9, vcc
	v_cmp_gt_u64_e32 vcc, 57, v[4:5]
	v_and_b32_e32 v0, 0xffffff1f, v0
	v_cndmask_b32_e32 v9, 0, v6, vcc
	v_lshl_add_u32 v10, v30, 2, 28
	v_or_b32_e32 v0, v0, v9
	v_and_or_b32 v0, v10, s23, v0
	v_lshlrev_b32_e32 v36, 6, v34
	v_readfirstlane_b32 s16, v27
	v_readfirstlane_b32 s17, v35
	s_nop 4
	global_store_dwordx4 v36, v[0:3], s[16:17]
	global_store_dwordx4 v36, v[13:16], s[16:17] offset:16
	global_store_dwordx4 v36, v[17:20], s[16:17] offset:32
	;; [unrolled: 1-line block ×3, first 2 shown]
	s_and_saveexec_b64 s[16:17], s[4:5]
	s_cbranch_execz .LBB2_75
; %bb.68:                               ;   in Loop: Header=BB2_3 Depth=1
	global_load_dwordx2 v[15:16], v29, s[12:13] offset:32 glc
	global_load_dwordx2 v[0:1], v29, s[12:13] offset:40
	v_mov_b32_e32 v13, s14
	v_mov_b32_e32 v14, s15
	s_waitcnt vmcnt(0)
	v_readfirstlane_b32 s18, v0
	v_readfirstlane_b32 s19, v1
	s_and_b64 s[18:19], s[18:19], s[14:15]
	s_mul_i32 s19, s19, 24
	s_mul_hi_u32 s20, s18, 24
	s_mul_i32 s18, s18, 24
	s_add_i32 s19, s20, s19
	v_mov_b32_e32 v0, s19
	v_add_co_u32_e32 v9, vcc, s18, v25
	v_addc_co_u32_e32 v10, vcc, v26, v0, vcc
	global_store_dwordx2 v[9:10], v[15:16], off
	s_waitcnt vmcnt(0)
	global_atomic_cmpswap_x2 v[2:3], v29, v[13:16], s[12:13] offset:32 glc
	s_waitcnt vmcnt(0)
	v_cmp_ne_u64_e32 vcc, v[2:3], v[15:16]
	s_and_saveexec_b64 s[18:19], vcc
	s_cbranch_execz .LBB2_71
; %bb.69:                               ;   in Loop: Header=BB2_3 Depth=1
	s_mov_b64 s[20:21], 0
.LBB2_70:                               ;   Parent Loop BB2_3 Depth=1
                                        ; =>  This Inner Loop Header: Depth=2
	s_sleep 1
	global_store_dwordx2 v[9:10], v[2:3], off
	v_mov_b32_e32 v0, s14
	v_mov_b32_e32 v1, s15
	s_waitcnt vmcnt(0)
	global_atomic_cmpswap_x2 v[0:1], v29, v[0:3], s[12:13] offset:32 glc
	s_waitcnt vmcnt(0)
	v_cmp_eq_u64_e32 vcc, v[0:1], v[2:3]
	v_mov_b32_e32 v3, v1
	s_or_b64 s[20:21], vcc, s[20:21]
	v_mov_b32_e32 v2, v0
	s_andn2_b64 exec, exec, s[20:21]
	s_cbranch_execnz .LBB2_70
.LBB2_71:                               ;   in Loop: Header=BB2_3 Depth=1
	s_or_b64 exec, exec, s[18:19]
	global_load_dwordx2 v[0:1], v29, s[12:13] offset:16
	s_mov_b64 s[20:21], exec
	v_mbcnt_lo_u32_b32 v2, s20, 0
	v_mbcnt_hi_u32_b32 v2, s21, v2
	v_cmp_eq_u32_e32 vcc, 0, v2
	s_and_saveexec_b64 s[18:19], vcc
	s_cbranch_execz .LBB2_73
; %bb.72:                               ;   in Loop: Header=BB2_3 Depth=1
	s_bcnt1_i32_b64 s20, s[20:21]
	v_mov_b32_e32 v28, s20
	s_waitcnt vmcnt(0)
	global_atomic_add_x2 v[0:1], v[28:29], off offset:8
.LBB2_73:                               ;   in Loop: Header=BB2_3 Depth=1
	s_or_b64 exec, exec, s[18:19]
	s_waitcnt vmcnt(0)
	global_load_dwordx2 v[2:3], v[0:1], off offset:16
	s_waitcnt vmcnt(0)
	v_cmp_eq_u64_e32 vcc, 0, v[2:3]
	s_cbranch_vccnz .LBB2_75
; %bb.74:                               ;   in Loop: Header=BB2_3 Depth=1
	global_load_dword v28, v[0:1], off offset:24
	s_waitcnt vmcnt(0)
	v_readfirstlane_b32 s18, v28
	s_and_b32 m0, s18, 0xffffff
	global_store_dwordx2 v[2:3], v[28:29], off
	s_sendmsg sendmsg(MSG_INTERRUPT)
.LBB2_75:                               ;   in Loop: Header=BB2_3 Depth=1
	s_or_b64 exec, exec, s[16:17]
	v_add_co_u32_e32 v0, vcc, v27, v36
	v_addc_co_u32_e32 v1, vcc, 0, v35, vcc
	s_branch .LBB2_79
.LBB2_76:                               ;   in Loop: Header=BB2_79 Depth=2
	s_or_b64 exec, exec, s[16:17]
	v_readfirstlane_b32 s16, v2
	s_cmp_eq_u32 s16, 0
	s_cbranch_scc1 .LBB2_78
; %bb.77:                               ;   in Loop: Header=BB2_79 Depth=2
	s_sleep 1
	s_cbranch_execnz .LBB2_79
	s_branch .LBB2_81
.LBB2_78:                               ;   in Loop: Header=BB2_3 Depth=1
	s_branch .LBB2_81
.LBB2_79:                               ;   Parent Loop BB2_3 Depth=1
                                        ; =>  This Inner Loop Header: Depth=2
	v_mov_b32_e32 v2, 1
	s_and_saveexec_b64 s[16:17], s[4:5]
	s_cbranch_execz .LBB2_76
; %bb.80:                               ;   in Loop: Header=BB2_79 Depth=2
	global_load_dword v2, v[32:33], off offset:20 glc
	s_waitcnt vmcnt(0)
	buffer_wbinvl1_vol
	v_and_b32_e32 v2, 1, v2
	s_branch .LBB2_76
.LBB2_81:                               ;   in Loop: Header=BB2_3 Depth=1
	global_load_dwordx2 v[0:1], v[0:1], off
	s_and_saveexec_b64 s[16:17], s[4:5]
	s_cbranch_execz .LBB2_2
; %bb.82:                               ;   in Loop: Header=BB2_3 Depth=1
	global_load_dwordx2 v[2:3], v29, s[12:13] offset:40
	global_load_dwordx2 v[17:18], v29, s[12:13] offset:24 glc
	global_load_dwordx2 v[9:10], v29, s[12:13]
	s_waitcnt vmcnt(2)
	v_readfirstlane_b32 s18, v2
	v_readfirstlane_b32 s19, v3
	s_add_u32 s20, s18, 1
	s_addc_u32 s21, s19, 0
	s_add_u32 s4, s20, s14
	s_addc_u32 s5, s21, s15
	s_cmp_eq_u64 s[4:5], 0
	s_cselect_b32 s5, s21, s5
	s_cselect_b32 s4, s20, s4
	s_and_b64 s[14:15], s[4:5], s[18:19]
	s_mul_i32 s15, s15, 24
	s_mul_hi_u32 s18, s14, 24
	s_mul_i32 s14, s14, 24
	s_add_i32 s15, s18, s15
	v_mov_b32_e32 v3, s15
	s_waitcnt vmcnt(0)
	v_add_co_u32_e32 v2, vcc, s14, v9
	v_addc_co_u32_e32 v3, vcc, v10, v3, vcc
	v_mov_b32_e32 v15, s4
	global_store_dwordx2 v[2:3], v[17:18], off
	v_mov_b32_e32 v16, s5
	s_waitcnt vmcnt(0)
	global_atomic_cmpswap_x2 v[15:16], v29, v[15:18], s[12:13] offset:24 glc
	s_waitcnt vmcnt(0)
	v_cmp_ne_u64_e32 vcc, v[15:16], v[17:18]
	s_and_b64 exec, exec, vcc
	s_cbranch_execz .LBB2_2
; %bb.83:                               ;   in Loop: Header=BB2_3 Depth=1
	s_mov_b64 s[14:15], 0
.LBB2_84:                               ;   Parent Loop BB2_3 Depth=1
                                        ; =>  This Inner Loop Header: Depth=2
	s_sleep 1
	global_store_dwordx2 v[2:3], v[15:16], off
	v_mov_b32_e32 v13, s4
	v_mov_b32_e32 v14, s5
	s_waitcnt vmcnt(0)
	global_atomic_cmpswap_x2 v[9:10], v29, v[13:16], s[12:13] offset:24 glc
	s_waitcnt vmcnt(0)
	v_cmp_eq_u64_e32 vcc, v[9:10], v[15:16]
	v_mov_b32_e32 v16, v10
	s_or_b64 s[14:15], vcc, s[14:15]
	v_mov_b32_e32 v15, v9
	s_andn2_b64 exec, exec, s[14:15]
	s_cbranch_execnz .LBB2_84
	s_branch .LBB2_2
.LBB2_85:
	s_or_b64 exec, exec, s[6:7]
                                        ; implicit-def: $vgpr3
                                        ; implicit-def: $vgpr2
.LBB2_86:
	s_andn2_saveexec_b64 s[6:7], s[10:11]
	s_cbranch_execz .LBB2_109
; %bb.87:
	s_load_dwordx2 s[8:9], s[8:9], 0x50
	v_mbcnt_hi_u32_b32 v10, -1, v2
	v_readfirstlane_b32 s4, v10
	v_mov_b32_e32 v8, 0
	v_mov_b32_e32 v9, 0
	v_cmp_eq_u32_e64 s[4:5], s4, v10
	s_and_saveexec_b64 s[10:11], s[4:5]
	s_cbranch_execz .LBB2_93
; %bb.88:
	s_waitcnt vmcnt(0)
	v_mov_b32_e32 v0, 0
	s_waitcnt lgkmcnt(0)
	global_load_dwordx2 v[6:7], v0, s[8:9] offset:24 glc
	s_waitcnt vmcnt(0)
	buffer_wbinvl1_vol
	global_load_dwordx2 v[4:5], v0, s[8:9] offset:40
	global_load_dwordx2 v[8:9], v0, s[8:9]
	s_waitcnt vmcnt(1)
	v_and_b32_e32 v2, v4, v6
	v_and_b32_e32 v4, v5, v7
	v_mul_lo_u32 v4, v4, 24
	v_mul_hi_u32 v5, v2, 24
	v_mul_lo_u32 v2, v2, 24
	v_add_u32_e32 v5, v5, v4
	s_waitcnt vmcnt(0)
	v_add_co_u32_e32 v4, vcc, v8, v2
	v_addc_co_u32_e32 v5, vcc, v9, v5, vcc
	global_load_dwordx2 v[4:5], v[4:5], off glc
	s_waitcnt vmcnt(0)
	global_atomic_cmpswap_x2 v[8:9], v0, v[4:7], s[8:9] offset:24 glc
	s_waitcnt vmcnt(0)
	buffer_wbinvl1_vol
	v_cmp_ne_u64_e32 vcc, v[8:9], v[6:7]
	s_and_saveexec_b64 s[12:13], vcc
	s_cbranch_execz .LBB2_92
; %bb.89:
	s_mov_b64 s[14:15], 0
.LBB2_90:                               ; =>This Inner Loop Header: Depth=1
	s_sleep 1
	global_load_dwordx2 v[4:5], v0, s[8:9] offset:40
	global_load_dwordx2 v[11:12], v0, s[8:9]
	v_mov_b32_e32 v6, v8
	v_mov_b32_e32 v7, v9
	s_waitcnt vmcnt(1)
	v_and_b32_e32 v2, v4, v6
	s_waitcnt vmcnt(0)
	v_mad_u64_u32 v[8:9], s[16:17], v2, 24, v[11:12]
	v_and_b32_e32 v4, v5, v7
	v_mov_b32_e32 v2, v9
	v_mad_u64_u32 v[4:5], s[16:17], v4, 24, v[2:3]
	v_mov_b32_e32 v9, v4
	global_load_dwordx2 v[4:5], v[8:9], off glc
	s_waitcnt vmcnt(0)
	global_atomic_cmpswap_x2 v[8:9], v0, v[4:7], s[8:9] offset:24 glc
	s_waitcnt vmcnt(0)
	buffer_wbinvl1_vol
	v_cmp_eq_u64_e32 vcc, v[8:9], v[6:7]
	s_or_b64 s[14:15], vcc, s[14:15]
	s_andn2_b64 exec, exec, s[14:15]
	s_cbranch_execnz .LBB2_90
; %bb.91:
	s_or_b64 exec, exec, s[14:15]
.LBB2_92:
	s_or_b64 exec, exec, s[12:13]
.LBB2_93:
	s_or_b64 exec, exec, s[10:11]
	v_mov_b32_e32 v2, 0
	s_waitcnt lgkmcnt(0)
	global_load_dwordx2 v[11:12], v2, s[8:9] offset:40
	global_load_dwordx4 v[4:7], v2, s[8:9]
	v_readfirstlane_b32 s11, v9
	v_readfirstlane_b32 s10, v8
	s_mov_b64 s[12:13], exec
	s_waitcnt vmcnt(1)
	v_readfirstlane_b32 s14, v11
	v_readfirstlane_b32 s15, v12
	s_and_b64 s[14:15], s[14:15], s[10:11]
	s_mul_i32 s16, s15, 24
	s_mul_hi_u32 s17, s14, 24
	s_mul_i32 s18, s14, 24
	s_add_i32 s16, s17, s16
	v_mov_b32_e32 v0, s16
	s_waitcnt vmcnt(0)
	v_add_co_u32_e32 v8, vcc, s18, v4
	v_addc_co_u32_e32 v9, vcc, v5, v0, vcc
	s_and_saveexec_b64 s[16:17], s[4:5]
	s_cbranch_execz .LBB2_95
; %bb.94:
	v_mov_b32_e32 v11, s12
	v_mov_b32_e32 v12, s13
	;; [unrolled: 1-line block ×4, first 2 shown]
	global_store_dwordx4 v[8:9], v[11:14], off offset:8
.LBB2_95:
	s_or_b64 exec, exec, s[16:17]
	s_lshl_b64 s[12:13], s[14:15], 12
	v_mov_b32_e32 v0, s13
	v_add_co_u32_e32 v11, vcc, s12, v6
	v_addc_co_u32_e32 v12, vcc, v7, v0, vcc
	s_movk_i32 s12, 0xff1f
	v_and_or_b32 v0, v3, s12, 32
	v_lshlrev_b32_e32 v10, 6, v10
	s_mov_b32 s12, 0
	v_mov_b32_e32 v3, v2
	v_readfirstlane_b32 s16, v11
	v_readfirstlane_b32 s17, v12
	v_add_co_u32_e32 v6, vcc, v11, v10
	s_mov_b32 s13, s12
	s_mov_b32 s14, s12
	;; [unrolled: 1-line block ×3, first 2 shown]
	s_nop 0
	global_store_dwordx4 v10, v[0:3], s[16:17]
	v_addc_co_u32_e32 v7, vcc, 0, v12, vcc
	v_mov_b32_e32 v0, s12
	v_mov_b32_e32 v1, s13
	;; [unrolled: 1-line block ×4, first 2 shown]
	global_store_dwordx4 v10, v[0:3], s[16:17] offset:16
	global_store_dwordx4 v10, v[0:3], s[16:17] offset:32
	;; [unrolled: 1-line block ×3, first 2 shown]
	s_and_saveexec_b64 s[12:13], s[4:5]
	s_cbranch_execz .LBB2_103
; %bb.96:
	v_mov_b32_e32 v10, 0
	global_load_dwordx2 v[13:14], v10, s[8:9] offset:32 glc
	global_load_dwordx2 v[0:1], v10, s[8:9] offset:40
	v_mov_b32_e32 v11, s10
	v_mov_b32_e32 v12, s11
	s_waitcnt vmcnt(0)
	v_and_b32_e32 v0, s10, v0
	v_and_b32_e32 v1, s11, v1
	v_mul_lo_u32 v1, v1, 24
	v_mul_hi_u32 v2, v0, 24
	v_mul_lo_u32 v0, v0, 24
	v_add_u32_e32 v1, v2, v1
	v_add_co_u32_e32 v4, vcc, v4, v0
	v_addc_co_u32_e32 v5, vcc, v5, v1, vcc
	global_store_dwordx2 v[4:5], v[13:14], off
	s_waitcnt vmcnt(0)
	global_atomic_cmpswap_x2 v[2:3], v10, v[11:14], s[8:9] offset:32 glc
	s_waitcnt vmcnt(0)
	v_cmp_ne_u64_e32 vcc, v[2:3], v[13:14]
	s_and_saveexec_b64 s[14:15], vcc
	s_cbranch_execz .LBB2_99
; %bb.97:
	s_mov_b64 s[16:17], 0
.LBB2_98:                               ; =>This Inner Loop Header: Depth=1
	s_sleep 1
	global_store_dwordx2 v[4:5], v[2:3], off
	v_mov_b32_e32 v0, s10
	v_mov_b32_e32 v1, s11
	s_waitcnt vmcnt(0)
	global_atomic_cmpswap_x2 v[0:1], v10, v[0:3], s[8:9] offset:32 glc
	s_waitcnt vmcnt(0)
	v_cmp_eq_u64_e32 vcc, v[0:1], v[2:3]
	v_mov_b32_e32 v3, v1
	s_or_b64 s[16:17], vcc, s[16:17]
	v_mov_b32_e32 v2, v0
	s_andn2_b64 exec, exec, s[16:17]
	s_cbranch_execnz .LBB2_98
.LBB2_99:
	s_or_b64 exec, exec, s[14:15]
	v_mov_b32_e32 v3, 0
	global_load_dwordx2 v[0:1], v3, s[8:9] offset:16
	s_mov_b64 s[14:15], exec
	v_mbcnt_lo_u32_b32 v2, s14, 0
	v_mbcnt_hi_u32_b32 v2, s15, v2
	v_cmp_eq_u32_e32 vcc, 0, v2
	s_and_saveexec_b64 s[16:17], vcc
	s_cbranch_execz .LBB2_101
; %bb.100:
	s_bcnt1_i32_b64 s14, s[14:15]
	v_mov_b32_e32 v2, s14
	s_waitcnt vmcnt(0)
	global_atomic_add_x2 v[0:1], v[2:3], off offset:8
.LBB2_101:
	s_or_b64 exec, exec, s[16:17]
	s_waitcnt vmcnt(0)
	global_load_dwordx2 v[2:3], v[0:1], off offset:16
	s_waitcnt vmcnt(0)
	v_cmp_eq_u64_e32 vcc, 0, v[2:3]
	s_cbranch_vccnz .LBB2_103
; %bb.102:
	global_load_dword v0, v[0:1], off offset:24
	v_mov_b32_e32 v1, 0
	s_waitcnt vmcnt(0)
	v_readfirstlane_b32 s14, v0
	s_and_b32 m0, s14, 0xffffff
	global_store_dwordx2 v[2:3], v[0:1], off
	s_sendmsg sendmsg(MSG_INTERRUPT)
.LBB2_103:
	s_or_b64 exec, exec, s[12:13]
	s_branch .LBB2_107
.LBB2_104:                              ;   in Loop: Header=BB2_107 Depth=1
	s_or_b64 exec, exec, s[12:13]
	v_readfirstlane_b32 s12, v0
	s_cmp_eq_u32 s12, 0
	s_cbranch_scc1 .LBB2_106
; %bb.105:                              ;   in Loop: Header=BB2_107 Depth=1
	s_sleep 1
	s_cbranch_execnz .LBB2_107
	s_branch .LBB2_110
.LBB2_106:
	s_branch .LBB2_110
.LBB2_107:                              ; =>This Inner Loop Header: Depth=1
	v_mov_b32_e32 v0, 1
	s_and_saveexec_b64 s[12:13], s[4:5]
	s_cbranch_execz .LBB2_104
; %bb.108:                              ;   in Loop: Header=BB2_107 Depth=1
	global_load_dword v0, v[8:9], off offset:20 glc
	s_waitcnt vmcnt(0)
	buffer_wbinvl1_vol
	v_and_b32_e32 v0, 1, v0
	s_branch .LBB2_104
.LBB2_109:
	s_or_b64 exec, exec, s[6:7]
	s_waitcnt vmcnt(0) lgkmcnt(0)
	s_setpc_b64 s[30:31]
.LBB2_110:
	global_load_dwordx2 v[0:1], v[6:7], off
	s_and_saveexec_b64 s[12:13], s[4:5]
	s_cbranch_execz .LBB2_113
; %bb.111:
	v_mov_b32_e32 v8, 0
	global_load_dwordx2 v[2:3], v8, s[8:9] offset:40
	global_load_dwordx2 v[11:12], v8, s[8:9] offset:24 glc
	global_load_dwordx2 v[4:5], v8, s[8:9]
	s_waitcnt vmcnt(2)
	v_readfirstlane_b32 s14, v2
	v_readfirstlane_b32 s15, v3
	s_add_u32 s16, s14, 1
	s_addc_u32 s17, s15, 0
	s_add_u32 s4, s16, s10
	s_addc_u32 s5, s17, s11
	s_cmp_eq_u64 s[4:5], 0
	s_cselect_b32 s5, s17, s5
	s_cselect_b32 s4, s16, s4
	s_and_b64 s[10:11], s[4:5], s[14:15]
	s_mul_i32 s11, s11, 24
	s_mul_hi_u32 s14, s10, 24
	s_mul_i32 s10, s10, 24
	s_add_i32 s11, s14, s11
	v_mov_b32_e32 v2, s11
	s_waitcnt vmcnt(0)
	v_add_co_u32_e32 v6, vcc, s10, v4
	v_addc_co_u32_e32 v7, vcc, v5, v2, vcc
	v_mov_b32_e32 v9, s4
	global_store_dwordx2 v[6:7], v[11:12], off
	v_mov_b32_e32 v10, s5
	s_waitcnt vmcnt(0)
	global_atomic_cmpswap_x2 v[4:5], v8, v[9:12], s[8:9] offset:24 glc
	s_mov_b64 s[10:11], 0
	s_waitcnt vmcnt(0)
	v_cmp_ne_u64_e32 vcc, v[4:5], v[11:12]
	s_and_b64 exec, exec, vcc
	s_cbranch_execz .LBB2_113
.LBB2_112:                              ; =>This Inner Loop Header: Depth=1
	s_sleep 1
	global_store_dwordx2 v[6:7], v[4:5], off
	v_mov_b32_e32 v2, s4
	v_mov_b32_e32 v3, s5
	s_waitcnt vmcnt(0)
	global_atomic_cmpswap_x2 v[2:3], v8, v[2:5], s[8:9] offset:24 glc
	s_waitcnt vmcnt(0)
	v_cmp_eq_u64_e32 vcc, v[2:3], v[4:5]
	v_mov_b32_e32 v5, v3
	s_or_b64 s[10:11], vcc, s[10:11]
	v_mov_b32_e32 v4, v2
	s_andn2_b64 exec, exec, s[10:11]
	s_cbranch_execnz .LBB2_112
.LBB2_113:
	s_or_b64 exec, exec, s[12:13]
	s_or_b64 exec, exec, s[6:7]
	s_waitcnt vmcnt(0) lgkmcnt(0)
	s_setpc_b64 s[30:31]
.Lfunc_end2:
	.size	__ockl_printf_append_string_n, .Lfunc_end2-__ockl_printf_append_string_n
                                        ; -- End function
	.set .L__ockl_printf_append_string_n.num_vgpr, 37
	.set .L__ockl_printf_append_string_n.num_agpr, 0
	.set .L__ockl_printf_append_string_n.numbered_sgpr, 32
	.set .L__ockl_printf_append_string_n.num_named_barrier, 0
	.set .L__ockl_printf_append_string_n.private_seg_size, 0
	.set .L__ockl_printf_append_string_n.uses_vcc, 1
	.set .L__ockl_printf_append_string_n.uses_flat_scratch, 0
	.set .L__ockl_printf_append_string_n.has_dyn_sized_stack, 0
	.set .L__ockl_printf_append_string_n.has_recursion, 0
	.set .L__ockl_printf_append_string_n.has_indirect_call, 0
	.section	.AMDGPU.csdata,"",@progbits
; Function info:
; codeLenInByte = 3872
; TotalNumSgprs: 36
; NumVgprs: 37
; ScratchSize: 0
; MemoryBound: 0
	.text
	.p2align	2                               ; -- Begin function __ockl_printf_append_args
	.type	__ockl_printf_append_args,@function
__ockl_printf_append_args:              ; @__ockl_printf_append_args
; %bb.0:
	s_waitcnt vmcnt(0) expcnt(0) lgkmcnt(0)
	s_load_dwordx2 s[6:7], s[8:9], 0x50
	v_mbcnt_lo_u32_b32 v5, -1, 0
	v_mbcnt_hi_u32_b32 v11, -1, v5
	v_readfirstlane_b32 s4, v11
	v_mov_b32_e32 v9, 0
	v_mov_b32_e32 v10, 0
	v_cmp_eq_u32_e64 s[4:5], s4, v11
	s_and_saveexec_b64 s[8:9], s[4:5]
	s_cbranch_execz .LBB3_6
; %bb.1:
	v_mov_b32_e32 v5, 0
	s_waitcnt lgkmcnt(0)
	global_load_dwordx2 v[14:15], v5, s[6:7] offset:24 glc
	s_waitcnt vmcnt(0)
	buffer_wbinvl1_vol
	global_load_dwordx2 v[6:7], v5, s[6:7] offset:40
	global_load_dwordx2 v[8:9], v5, s[6:7]
	s_waitcnt vmcnt(1)
	v_and_b32_e32 v6, v6, v14
	v_and_b32_e32 v7, v7, v15
	v_mul_lo_u32 v7, v7, 24
	v_mul_hi_u32 v10, v6, 24
	v_mul_lo_u32 v6, v6, 24
	v_add_u32_e32 v7, v10, v7
	s_waitcnt vmcnt(0)
	v_add_co_u32_e32 v6, vcc, v8, v6
	v_addc_co_u32_e32 v7, vcc, v9, v7, vcc
	global_load_dwordx2 v[12:13], v[6:7], off glc
	s_waitcnt vmcnt(0)
	global_atomic_cmpswap_x2 v[9:10], v5, v[12:15], s[6:7] offset:24 glc
	s_waitcnt vmcnt(0)
	buffer_wbinvl1_vol
	v_cmp_ne_u64_e32 vcc, v[9:10], v[14:15]
	s_and_saveexec_b64 s[10:11], vcc
	s_cbranch_execz .LBB3_5
; %bb.2:
	s_mov_b64 s[12:13], 0
.LBB3_3:                                ; =>This Inner Loop Header: Depth=1
	s_sleep 1
	global_load_dwordx2 v[6:7], v5, s[6:7] offset:40
	global_load_dwordx2 v[12:13], v5, s[6:7]
	v_mov_b32_e32 v15, v10
	v_mov_b32_e32 v14, v9
	s_waitcnt vmcnt(1)
	v_and_b32_e32 v6, v6, v14
	s_waitcnt vmcnt(0)
	v_mad_u64_u32 v[8:9], s[14:15], v6, 24, v[12:13]
	v_and_b32_e32 v7, v7, v15
	v_mov_b32_e32 v6, v9
	v_mad_u64_u32 v[6:7], s[14:15], v7, 24, v[6:7]
	v_mov_b32_e32 v9, v6
	global_load_dwordx2 v[12:13], v[8:9], off glc
	s_waitcnt vmcnt(0)
	global_atomic_cmpswap_x2 v[9:10], v5, v[12:15], s[6:7] offset:24 glc
	s_waitcnt vmcnt(0)
	buffer_wbinvl1_vol
	v_cmp_eq_u64_e32 vcc, v[9:10], v[14:15]
	s_or_b64 s[12:13], vcc, s[12:13]
	s_andn2_b64 exec, exec, s[12:13]
	s_cbranch_execnz .LBB3_3
; %bb.4:
	s_or_b64 exec, exec, s[12:13]
.LBB3_5:
	s_or_b64 exec, exec, s[10:11]
.LBB3_6:
	s_or_b64 exec, exec, s[8:9]
	v_mov_b32_e32 v14, 0
	s_waitcnt lgkmcnt(0)
	global_load_dwordx2 v[12:13], v14, s[6:7] offset:40
	global_load_dwordx4 v[5:8], v14, s[6:7]
	v_readfirstlane_b32 s9, v10
	v_readfirstlane_b32 s8, v9
	s_mov_b64 s[10:11], exec
	s_waitcnt vmcnt(1)
	v_readfirstlane_b32 s12, v12
	v_readfirstlane_b32 s13, v13
	s_and_b64 s[12:13], s[12:13], s[8:9]
	s_mul_i32 s14, s13, 24
	s_mul_hi_u32 s15, s12, 24
	s_mul_i32 s16, s12, 24
	s_add_i32 s14, s15, s14
	v_mov_b32_e32 v10, s14
	s_waitcnt vmcnt(0)
	v_add_co_u32_e32 v9, vcc, s16, v5
	v_addc_co_u32_e32 v10, vcc, v6, v10, vcc
	s_and_saveexec_b64 s[14:15], s[4:5]
	s_cbranch_execz .LBB3_8
; %bb.7:
	v_mov_b32_e32 v13, s11
	v_mov_b32_e32 v12, s10
	;; [unrolled: 1-line block ×4, first 2 shown]
	global_store_dwordx4 v[9:10], v[12:15], off offset:8
.LBB3_8:
	s_or_b64 exec, exec, s[14:15]
	s_lshl_b64 s[10:11], s[12:13], 12
	v_mov_b32_e32 v12, s11
	v_add_co_u32_e32 v13, vcc, s10, v7
	v_addc_co_u32_e32 v12, vcc, v8, v12, vcc
	v_or_b32_e32 v7, 2, v0
	v_cmp_eq_u32_e32 vcc, 0, v4
	v_cndmask_b32_e32 v0, v7, v0, vcc
	s_movk_i32 s10, 0xff1f
	s_mov_b32 s12, 0
	v_and_or_b32 v0, v0, s10, 32
	v_lshlrev_b32_e32 v4, 6, v11
	v_readfirstlane_b32 s10, v13
	v_readfirstlane_b32 s11, v12
	v_add_co_u32_e32 v7, vcc, v13, v4
	s_mov_b32 s13, s12
	s_mov_b32 s14, s12
	s_mov_b32 s15, s12
	s_nop 0
	global_store_dwordx4 v4, v[0:3], s[10:11]
	v_addc_co_u32_e32 v8, vcc, 0, v12, vcc
	v_mov_b32_e32 v0, s12
	v_mov_b32_e32 v1, s13
	;; [unrolled: 1-line block ×4, first 2 shown]
	global_store_dwordx4 v4, v[0:3], s[10:11] offset:16
	global_store_dwordx4 v4, v[0:3], s[10:11] offset:32
	;; [unrolled: 1-line block ×3, first 2 shown]
	s_and_saveexec_b64 s[10:11], s[4:5]
	s_cbranch_execz .LBB3_16
; %bb.9:
	v_mov_b32_e32 v11, 0
	global_load_dwordx2 v[14:15], v11, s[6:7] offset:32 glc
	global_load_dwordx2 v[0:1], v11, s[6:7] offset:40
	v_mov_b32_e32 v12, s8
	v_mov_b32_e32 v13, s9
	s_waitcnt vmcnt(0)
	v_and_b32_e32 v0, s8, v0
	v_and_b32_e32 v1, s9, v1
	v_mul_lo_u32 v1, v1, 24
	v_mul_hi_u32 v2, v0, 24
	v_mul_lo_u32 v0, v0, 24
	v_add_u32_e32 v1, v2, v1
	v_add_co_u32_e32 v4, vcc, v5, v0
	v_addc_co_u32_e32 v5, vcc, v6, v1, vcc
	global_store_dwordx2 v[4:5], v[14:15], off
	s_waitcnt vmcnt(0)
	global_atomic_cmpswap_x2 v[2:3], v11, v[12:15], s[6:7] offset:32 glc
	s_waitcnt vmcnt(0)
	v_cmp_ne_u64_e32 vcc, v[2:3], v[14:15]
	s_and_saveexec_b64 s[12:13], vcc
	s_cbranch_execz .LBB3_12
; %bb.10:
	s_mov_b64 s[14:15], 0
.LBB3_11:                               ; =>This Inner Loop Header: Depth=1
	s_sleep 1
	global_store_dwordx2 v[4:5], v[2:3], off
	v_mov_b32_e32 v0, s8
	v_mov_b32_e32 v1, s9
	s_waitcnt vmcnt(0)
	global_atomic_cmpswap_x2 v[0:1], v11, v[0:3], s[6:7] offset:32 glc
	s_waitcnt vmcnt(0)
	v_cmp_eq_u64_e32 vcc, v[0:1], v[2:3]
	v_mov_b32_e32 v3, v1
	s_or_b64 s[14:15], vcc, s[14:15]
	v_mov_b32_e32 v2, v0
	s_andn2_b64 exec, exec, s[14:15]
	s_cbranch_execnz .LBB3_11
.LBB3_12:
	s_or_b64 exec, exec, s[12:13]
	v_mov_b32_e32 v3, 0
	global_load_dwordx2 v[0:1], v3, s[6:7] offset:16
	s_mov_b64 s[12:13], exec
	v_mbcnt_lo_u32_b32 v2, s12, 0
	v_mbcnt_hi_u32_b32 v2, s13, v2
	v_cmp_eq_u32_e32 vcc, 0, v2
	s_and_saveexec_b64 s[14:15], vcc
	s_cbranch_execz .LBB3_14
; %bb.13:
	s_bcnt1_i32_b64 s12, s[12:13]
	v_mov_b32_e32 v2, s12
	s_waitcnt vmcnt(0)
	global_atomic_add_x2 v[0:1], v[2:3], off offset:8
.LBB3_14:
	s_or_b64 exec, exec, s[14:15]
	s_waitcnt vmcnt(0)
	global_load_dwordx2 v[2:3], v[0:1], off offset:16
	s_waitcnt vmcnt(0)
	v_cmp_eq_u64_e32 vcc, 0, v[2:3]
	s_cbranch_vccnz .LBB3_16
; %bb.15:
	global_load_dword v0, v[0:1], off offset:24
	v_mov_b32_e32 v1, 0
	s_waitcnt vmcnt(0)
	v_readfirstlane_b32 s12, v0
	s_and_b32 m0, s12, 0xffffff
	global_store_dwordx2 v[2:3], v[0:1], off
	s_sendmsg sendmsg(MSG_INTERRUPT)
.LBB3_16:
	s_or_b64 exec, exec, s[10:11]
	s_branch .LBB3_20
.LBB3_17:                               ;   in Loop: Header=BB3_20 Depth=1
	s_or_b64 exec, exec, s[10:11]
	v_readfirstlane_b32 s10, v0
	s_cmp_eq_u32 s10, 0
	s_cbranch_scc1 .LBB3_19
; %bb.18:                               ;   in Loop: Header=BB3_20 Depth=1
	s_sleep 1
	s_cbranch_execnz .LBB3_20
	s_branch .LBB3_22
.LBB3_19:
	s_branch .LBB3_22
.LBB3_20:                               ; =>This Inner Loop Header: Depth=1
	v_mov_b32_e32 v0, 1
	s_and_saveexec_b64 s[10:11], s[4:5]
	s_cbranch_execz .LBB3_17
; %bb.21:                               ;   in Loop: Header=BB3_20 Depth=1
	global_load_dword v0, v[9:10], off offset:20 glc
	s_waitcnt vmcnt(0)
	buffer_wbinvl1_vol
	v_and_b32_e32 v0, 1, v0
	s_branch .LBB3_17
.LBB3_22:
	global_load_dwordx2 v[0:1], v[7:8], off
	s_and_saveexec_b64 s[10:11], s[4:5]
	s_cbranch_execz .LBB3_25
; %bb.23:
	v_mov_b32_e32 v8, 0
	global_load_dwordx2 v[2:3], v8, s[6:7] offset:40
	global_load_dwordx2 v[11:12], v8, s[6:7] offset:24 glc
	global_load_dwordx2 v[4:5], v8, s[6:7]
	s_waitcnt vmcnt(2)
	v_readfirstlane_b32 s12, v2
	v_readfirstlane_b32 s13, v3
	s_add_u32 s14, s12, 1
	s_addc_u32 s15, s13, 0
	s_add_u32 s4, s14, s8
	s_addc_u32 s5, s15, s9
	s_cmp_eq_u64 s[4:5], 0
	s_cselect_b32 s5, s15, s5
	s_cselect_b32 s4, s14, s4
	s_and_b64 s[8:9], s[4:5], s[12:13]
	s_mul_i32 s9, s9, 24
	s_mul_hi_u32 s12, s8, 24
	s_mul_i32 s8, s8, 24
	s_add_i32 s9, s12, s9
	v_mov_b32_e32 v2, s9
	s_waitcnt vmcnt(0)
	v_add_co_u32_e32 v6, vcc, s8, v4
	v_addc_co_u32_e32 v7, vcc, v5, v2, vcc
	v_mov_b32_e32 v9, s4
	global_store_dwordx2 v[6:7], v[11:12], off
	v_mov_b32_e32 v10, s5
	s_waitcnt vmcnt(0)
	global_atomic_cmpswap_x2 v[4:5], v8, v[9:12], s[6:7] offset:24 glc
	s_mov_b64 s[8:9], 0
	s_waitcnt vmcnt(0)
	v_cmp_ne_u64_e32 vcc, v[4:5], v[11:12]
	s_and_b64 exec, exec, vcc
	s_cbranch_execz .LBB3_25
.LBB3_24:                               ; =>This Inner Loop Header: Depth=1
	s_sleep 1
	global_store_dwordx2 v[6:7], v[4:5], off
	v_mov_b32_e32 v2, s4
	v_mov_b32_e32 v3, s5
	s_waitcnt vmcnt(0)
	global_atomic_cmpswap_x2 v[2:3], v8, v[2:5], s[6:7] offset:24 glc
	s_waitcnt vmcnt(0)
	v_cmp_eq_u64_e32 vcc, v[2:3], v[4:5]
	v_mov_b32_e32 v5, v3
	s_or_b64 s[8:9], vcc, s[8:9]
	v_mov_b32_e32 v4, v2
	s_andn2_b64 exec, exec, s[8:9]
	s_cbranch_execnz .LBB3_24
.LBB3_25:
	s_or_b64 exec, exec, s[10:11]
	s_waitcnt vmcnt(0) lgkmcnt(0)
	s_setpc_b64 s[30:31]
.Lfunc_end3:
	.size	__ockl_printf_append_args, .Lfunc_end3-__ockl_printf_append_args
                                        ; -- End function
	.set .L__ockl_printf_append_args.num_vgpr, 16
	.set .L__ockl_printf_append_args.num_agpr, 0
	.set .L__ockl_printf_append_args.numbered_sgpr, 32
	.set .L__ockl_printf_append_args.num_named_barrier, 0
	.set .L__ockl_printf_append_args.private_seg_size, 0
	.set .L__ockl_printf_append_args.uses_vcc, 1
	.set .L__ockl_printf_append_args.uses_flat_scratch, 0
	.set .L__ockl_printf_append_args.has_dyn_sized_stack, 0
	.set .L__ockl_printf_append_args.has_recursion, 0
	.set .L__ockl_printf_append_args.has_indirect_call, 0
	.section	.AMDGPU.csdata,"",@progbits
; Function info:
; codeLenInByte = 1216
; TotalNumSgprs: 36
; NumVgprs: 16
; ScratchSize: 0
; MemoryBound: 0
	.text
	.p2align	2                               ; -- Begin function __ockl_printf_begin
	.type	__ockl_printf_begin,@function
__ockl_printf_begin:                    ; @__ockl_printf_begin
; %bb.0:
	s_waitcnt vmcnt(0) expcnt(0) lgkmcnt(0)
	s_load_dwordx2 s[6:7], s[8:9], 0x50
	v_mbcnt_lo_u32_b32 v0, -1, 0
	v_mbcnt_hi_u32_b32 v9, -1, v0
	v_readfirstlane_b32 s4, v9
	v_mov_b32_e32 v5, 0
	v_mov_b32_e32 v6, 0
	v_cmp_eq_u32_e64 s[4:5], s4, v9
	s_and_saveexec_b64 s[8:9], s[4:5]
	s_cbranch_execz .LBB4_6
; %bb.1:
	v_mov_b32_e32 v0, 0
	s_waitcnt lgkmcnt(0)
	global_load_dwordx2 v[3:4], v0, s[6:7] offset:24 glc
	s_waitcnt vmcnt(0)
	buffer_wbinvl1_vol
	global_load_dwordx2 v[1:2], v0, s[6:7] offset:40
	global_load_dwordx2 v[5:6], v0, s[6:7]
	s_waitcnt vmcnt(1)
	v_and_b32_e32 v1, v1, v3
	v_and_b32_e32 v2, v2, v4
	v_mul_lo_u32 v2, v2, 24
	v_mul_hi_u32 v7, v1, 24
	v_mul_lo_u32 v1, v1, 24
	v_add_u32_e32 v2, v7, v2
	s_waitcnt vmcnt(0)
	v_add_co_u32_e32 v1, vcc, v5, v1
	v_addc_co_u32_e32 v2, vcc, v6, v2, vcc
	global_load_dwordx2 v[1:2], v[1:2], off glc
	s_waitcnt vmcnt(0)
	global_atomic_cmpswap_x2 v[5:6], v0, v[1:4], s[6:7] offset:24 glc
	s_waitcnt vmcnt(0)
	buffer_wbinvl1_vol
	v_cmp_ne_u64_e32 vcc, v[5:6], v[3:4]
	s_and_saveexec_b64 s[10:11], vcc
	s_cbranch_execz .LBB4_5
; %bb.2:
	s_mov_b64 s[12:13], 0
.LBB4_3:                                ; =>This Inner Loop Header: Depth=1
	s_sleep 1
	global_load_dwordx2 v[1:2], v0, s[6:7] offset:40
	global_load_dwordx2 v[7:8], v0, s[6:7]
	v_mov_b32_e32 v3, v5
	v_mov_b32_e32 v4, v6
	s_waitcnt vmcnt(1)
	v_and_b32_e32 v1, v1, v3
	s_waitcnt vmcnt(0)
	v_mad_u64_u32 v[5:6], s[14:15], v1, 24, v[7:8]
	v_and_b32_e32 v2, v2, v4
	v_mov_b32_e32 v1, v6
	v_mad_u64_u32 v[1:2], s[14:15], v2, 24, v[1:2]
	v_mov_b32_e32 v6, v1
	global_load_dwordx2 v[1:2], v[5:6], off glc
	s_waitcnt vmcnt(0)
	global_atomic_cmpswap_x2 v[5:6], v0, v[1:4], s[6:7] offset:24 glc
	s_waitcnt vmcnt(0)
	buffer_wbinvl1_vol
	v_cmp_eq_u64_e32 vcc, v[5:6], v[3:4]
	s_or_b64 s[12:13], vcc, s[12:13]
	s_andn2_b64 exec, exec, s[12:13]
	s_cbranch_execnz .LBB4_3
; %bb.4:
	s_or_b64 exec, exec, s[12:13]
.LBB4_5:
	s_or_b64 exec, exec, s[10:11]
.LBB4_6:
	s_or_b64 exec, exec, s[8:9]
	v_mov_b32_e32 v4, 0
	s_waitcnt lgkmcnt(0)
	global_load_dwordx2 v[7:8], v4, s[6:7] offset:40
	global_load_dwordx4 v[0:3], v4, s[6:7]
	v_readfirstlane_b32 s9, v6
	v_readfirstlane_b32 s8, v5
	s_mov_b64 s[10:11], exec
	s_waitcnt vmcnt(1)
	v_readfirstlane_b32 s12, v7
	v_readfirstlane_b32 s13, v8
	s_and_b64 s[12:13], s[12:13], s[8:9]
	s_mul_i32 s14, s13, 24
	s_mul_hi_u32 s15, s12, 24
	s_mul_i32 s16, s12, 24
	s_add_i32 s14, s15, s14
	v_mov_b32_e32 v5, s14
	s_waitcnt vmcnt(0)
	v_add_co_u32_e32 v7, vcc, s16, v0
	v_addc_co_u32_e32 v8, vcc, v1, v5, vcc
	s_and_saveexec_b64 s[14:15], s[4:5]
	s_cbranch_execz .LBB4_8
; %bb.7:
	v_mov_b32_e32 v10, s10
	v_mov_b32_e32 v11, s11
	;; [unrolled: 1-line block ×4, first 2 shown]
	global_store_dwordx4 v[7:8], v[10:13], off offset:8
.LBB4_8:
	s_or_b64 exec, exec, s[14:15]
	s_lshl_b64 s[10:11], s[12:13], 12
	v_mov_b32_e32 v5, s11
	v_add_co_u32_e32 v2, vcc, s10, v2
	v_addc_co_u32_e32 v11, vcc, v3, v5, vcc
	v_lshlrev_b32_e32 v12, 6, v9
	s_mov_b32 s12, 0
	v_mov_b32_e32 v3, 33
	v_mov_b32_e32 v5, v4
	;; [unrolled: 1-line block ×3, first 2 shown]
	v_readfirstlane_b32 s10, v2
	v_readfirstlane_b32 s11, v11
	v_add_co_u32_e32 v9, vcc, v2, v12
	s_mov_b32 s13, s12
	s_mov_b32 s14, s12
	;; [unrolled: 1-line block ×3, first 2 shown]
	s_nop 0
	global_store_dwordx4 v12, v[3:6], s[10:11]
	v_mov_b32_e32 v2, s12
	v_addc_co_u32_e32 v10, vcc, 0, v11, vcc
	v_mov_b32_e32 v3, s13
	v_mov_b32_e32 v4, s14
	;; [unrolled: 1-line block ×3, first 2 shown]
	global_store_dwordx4 v12, v[2:5], s[10:11] offset:16
	global_store_dwordx4 v12, v[2:5], s[10:11] offset:32
	;; [unrolled: 1-line block ×3, first 2 shown]
	s_and_saveexec_b64 s[10:11], s[4:5]
	s_cbranch_execz .LBB4_16
; %bb.9:
	v_mov_b32_e32 v6, 0
	global_load_dwordx2 v[13:14], v6, s[6:7] offset:32 glc
	global_load_dwordx2 v[2:3], v6, s[6:7] offset:40
	v_mov_b32_e32 v11, s8
	v_mov_b32_e32 v12, s9
	s_waitcnt vmcnt(0)
	v_and_b32_e32 v2, s8, v2
	v_and_b32_e32 v3, s9, v3
	v_mul_lo_u32 v3, v3, 24
	v_mul_hi_u32 v4, v2, 24
	v_mul_lo_u32 v2, v2, 24
	v_add_u32_e32 v3, v4, v3
	v_add_co_u32_e32 v4, vcc, v0, v2
	v_addc_co_u32_e32 v5, vcc, v1, v3, vcc
	global_store_dwordx2 v[4:5], v[13:14], off
	s_waitcnt vmcnt(0)
	global_atomic_cmpswap_x2 v[2:3], v6, v[11:14], s[6:7] offset:32 glc
	s_waitcnt vmcnt(0)
	v_cmp_ne_u64_e32 vcc, v[2:3], v[13:14]
	s_and_saveexec_b64 s[12:13], vcc
	s_cbranch_execz .LBB4_12
; %bb.10:
	s_mov_b64 s[14:15], 0
.LBB4_11:                               ; =>This Inner Loop Header: Depth=1
	s_sleep 1
	global_store_dwordx2 v[4:5], v[2:3], off
	v_mov_b32_e32 v0, s8
	v_mov_b32_e32 v1, s9
	s_waitcnt vmcnt(0)
	global_atomic_cmpswap_x2 v[0:1], v6, v[0:3], s[6:7] offset:32 glc
	s_waitcnt vmcnt(0)
	v_cmp_eq_u64_e32 vcc, v[0:1], v[2:3]
	v_mov_b32_e32 v3, v1
	s_or_b64 s[14:15], vcc, s[14:15]
	v_mov_b32_e32 v2, v0
	s_andn2_b64 exec, exec, s[14:15]
	s_cbranch_execnz .LBB4_11
.LBB4_12:
	s_or_b64 exec, exec, s[12:13]
	v_mov_b32_e32 v3, 0
	global_load_dwordx2 v[0:1], v3, s[6:7] offset:16
	s_mov_b64 s[12:13], exec
	v_mbcnt_lo_u32_b32 v2, s12, 0
	v_mbcnt_hi_u32_b32 v2, s13, v2
	v_cmp_eq_u32_e32 vcc, 0, v2
	s_and_saveexec_b64 s[14:15], vcc
	s_cbranch_execz .LBB4_14
; %bb.13:
	s_bcnt1_i32_b64 s12, s[12:13]
	v_mov_b32_e32 v2, s12
	s_waitcnt vmcnt(0)
	global_atomic_add_x2 v[0:1], v[2:3], off offset:8
.LBB4_14:
	s_or_b64 exec, exec, s[14:15]
	s_waitcnt vmcnt(0)
	global_load_dwordx2 v[2:3], v[0:1], off offset:16
	s_waitcnt vmcnt(0)
	v_cmp_eq_u64_e32 vcc, 0, v[2:3]
	s_cbranch_vccnz .LBB4_16
; %bb.15:
	global_load_dword v0, v[0:1], off offset:24
	v_mov_b32_e32 v1, 0
	s_waitcnt vmcnt(0)
	v_readfirstlane_b32 s12, v0
	s_and_b32 m0, s12, 0xffffff
	global_store_dwordx2 v[2:3], v[0:1], off
	s_sendmsg sendmsg(MSG_INTERRUPT)
.LBB4_16:
	s_or_b64 exec, exec, s[10:11]
	s_branch .LBB4_20
.LBB4_17:                               ;   in Loop: Header=BB4_20 Depth=1
	s_or_b64 exec, exec, s[10:11]
	v_readfirstlane_b32 s10, v0
	s_cmp_eq_u32 s10, 0
	s_cbranch_scc1 .LBB4_19
; %bb.18:                               ;   in Loop: Header=BB4_20 Depth=1
	s_sleep 1
	s_cbranch_execnz .LBB4_20
	s_branch .LBB4_22
.LBB4_19:
	s_branch .LBB4_22
.LBB4_20:                               ; =>This Inner Loop Header: Depth=1
	v_mov_b32_e32 v0, 1
	s_and_saveexec_b64 s[10:11], s[4:5]
	s_cbranch_execz .LBB4_17
; %bb.21:                               ;   in Loop: Header=BB4_20 Depth=1
	global_load_dword v0, v[7:8], off offset:20 glc
	s_waitcnt vmcnt(0)
	buffer_wbinvl1_vol
	v_and_b32_e32 v0, 1, v0
	s_branch .LBB4_17
.LBB4_22:
	global_load_dwordx2 v[0:1], v[9:10], off
	s_and_saveexec_b64 s[10:11], s[4:5]
	s_cbranch_execz .LBB4_25
; %bb.23:
	v_mov_b32_e32 v8, 0
	global_load_dwordx2 v[2:3], v8, s[6:7] offset:40
	global_load_dwordx2 v[11:12], v8, s[6:7] offset:24 glc
	global_load_dwordx2 v[4:5], v8, s[6:7]
	s_waitcnt vmcnt(2)
	v_readfirstlane_b32 s12, v2
	v_readfirstlane_b32 s13, v3
	s_add_u32 s14, s12, 1
	s_addc_u32 s15, s13, 0
	s_add_u32 s4, s14, s8
	s_addc_u32 s5, s15, s9
	s_cmp_eq_u64 s[4:5], 0
	s_cselect_b32 s5, s15, s5
	s_cselect_b32 s4, s14, s4
	s_and_b64 s[8:9], s[4:5], s[12:13]
	s_mul_i32 s9, s9, 24
	s_mul_hi_u32 s12, s8, 24
	s_mul_i32 s8, s8, 24
	s_add_i32 s9, s12, s9
	v_mov_b32_e32 v2, s9
	s_waitcnt vmcnt(0)
	v_add_co_u32_e32 v6, vcc, s8, v4
	v_addc_co_u32_e32 v7, vcc, v5, v2, vcc
	v_mov_b32_e32 v9, s4
	global_store_dwordx2 v[6:7], v[11:12], off
	v_mov_b32_e32 v10, s5
	s_waitcnt vmcnt(0)
	global_atomic_cmpswap_x2 v[4:5], v8, v[9:12], s[6:7] offset:24 glc
	s_mov_b64 s[8:9], 0
	s_waitcnt vmcnt(0)
	v_cmp_ne_u64_e32 vcc, v[4:5], v[11:12]
	s_and_b64 exec, exec, vcc
	s_cbranch_execz .LBB4_25
.LBB4_24:                               ; =>This Inner Loop Header: Depth=1
	s_sleep 1
	global_store_dwordx2 v[6:7], v[4:5], off
	v_mov_b32_e32 v2, s4
	v_mov_b32_e32 v3, s5
	s_waitcnt vmcnt(0)
	global_atomic_cmpswap_x2 v[2:3], v8, v[2:5], s[6:7] offset:24 glc
	s_waitcnt vmcnt(0)
	v_cmp_eq_u64_e32 vcc, v[2:3], v[4:5]
	v_mov_b32_e32 v5, v3
	s_or_b64 s[8:9], vcc, s[8:9]
	v_mov_b32_e32 v4, v2
	s_andn2_b64 exec, exec, s[8:9]
	s_cbranch_execnz .LBB4_24
.LBB4_25:
	s_or_b64 exec, exec, s[10:11]
	s_waitcnt vmcnt(0) lgkmcnt(0)
	s_setpc_b64 s[30:31]
.Lfunc_end4:
	.size	__ockl_printf_begin, .Lfunc_end4-__ockl_printf_begin
                                        ; -- End function
	.set .L__ockl_printf_begin.num_vgpr, 15
	.set .L__ockl_printf_begin.num_agpr, 0
	.set .L__ockl_printf_begin.numbered_sgpr, 32
	.set .L__ockl_printf_begin.num_named_barrier, 0
	.set .L__ockl_printf_begin.private_seg_size, 0
	.set .L__ockl_printf_begin.uses_vcc, 1
	.set .L__ockl_printf_begin.uses_flat_scratch, 0
	.set .L__ockl_printf_begin.has_dyn_sized_stack, 0
	.set .L__ockl_printf_begin.has_recursion, 0
	.set .L__ockl_printf_begin.has_indirect_call, 0
	.section	.AMDGPU.csdata,"",@progbits
; Function info:
; codeLenInByte = 1204
; TotalNumSgprs: 36
; NumVgprs: 15
; ScratchSize: 0
; MemoryBound: 0
	.text
	.protected	_Z16showDeviceKernelPiS_S_S_S_S_S_S_S_ ; -- Begin function _Z16showDeviceKernelPiS_S_S_S_S_S_S_S_
	.globl	_Z16showDeviceKernelPiS_S_S_S_S_S_S_S_
	.p2align	8
	.type	_Z16showDeviceKernelPiS_S_S_S_S_S_S_S_,@function
_Z16showDeviceKernelPiS_S_S_S_S_S_S_S_: ; @_Z16showDeviceKernelPiS_S_S_S_S_S_S_S_
; %bb.0:
	s_load_dwordx2 s[34:35], s[4:5], 0x98
	v_mbcnt_lo_u32_b32 v0, -1, 0
	v_mbcnt_hi_u32_b32 v45, -1, v0
	s_add_u32 s0, s0, s7
	s_mov_b64 s[26:27], s[4:5]
	v_readfirstlane_b32 s4, v45
	v_mov_b32_e32 v5, 0
	s_addc_u32 s1, s1, 0
	v_mov_b32_e32 v6, 0
	v_cmp_eq_u32_e64 s[4:5], s4, v45
	s_mov_b32 s32, 0
	s_and_saveexec_b64 s[6:7], s[4:5]
	s_cbranch_execz .LBB5_6
; %bb.1:
	v_mov_b32_e32 v0, 0
	s_waitcnt lgkmcnt(0)
	global_load_dwordx2 v[3:4], v0, s[34:35] offset:24 glc
	s_waitcnt vmcnt(0)
	buffer_wbinvl1_vol
	global_load_dwordx2 v[1:2], v0, s[34:35] offset:40
	global_load_dwordx2 v[5:6], v0, s[34:35]
	s_waitcnt vmcnt(1)
	v_and_b32_e32 v1, v1, v3
	v_and_b32_e32 v2, v2, v4
	v_mul_lo_u32 v2, v2, 24
	v_mul_hi_u32 v7, v1, 24
	v_mul_lo_u32 v1, v1, 24
	v_add_u32_e32 v2, v7, v2
	s_waitcnt vmcnt(0)
	v_add_co_u32_e32 v1, vcc, v5, v1
	v_addc_co_u32_e32 v2, vcc, v6, v2, vcc
	global_load_dwordx2 v[1:2], v[1:2], off glc
	s_waitcnt vmcnt(0)
	global_atomic_cmpswap_x2 v[5:6], v0, v[1:4], s[34:35] offset:24 glc
	s_waitcnt vmcnt(0)
	buffer_wbinvl1_vol
	v_cmp_ne_u64_e32 vcc, v[5:6], v[3:4]
	s_and_saveexec_b64 s[8:9], vcc
	s_cbranch_execz .LBB5_5
; %bb.2:
	s_mov_b64 s[10:11], 0
.LBB5_3:                                ; =>This Inner Loop Header: Depth=1
	s_sleep 1
	global_load_dwordx2 v[1:2], v0, s[34:35] offset:40
	global_load_dwordx2 v[7:8], v0, s[34:35]
	v_mov_b32_e32 v3, v5
	v_mov_b32_e32 v4, v6
	s_waitcnt vmcnt(1)
	v_and_b32_e32 v1, v1, v3
	s_waitcnt vmcnt(0)
	v_mad_u64_u32 v[5:6], s[12:13], v1, 24, v[7:8]
	v_and_b32_e32 v2, v2, v4
	v_mov_b32_e32 v1, v6
	v_mad_u64_u32 v[1:2], s[12:13], v2, 24, v[1:2]
	v_mov_b32_e32 v6, v1
	global_load_dwordx2 v[1:2], v[5:6], off glc
	s_waitcnt vmcnt(0)
	global_atomic_cmpswap_x2 v[5:6], v0, v[1:4], s[34:35] offset:24 glc
	s_waitcnt vmcnt(0)
	buffer_wbinvl1_vol
	v_cmp_eq_u64_e32 vcc, v[5:6], v[3:4]
	s_or_b64 s[10:11], vcc, s[10:11]
	s_andn2_b64 exec, exec, s[10:11]
	s_cbranch_execnz .LBB5_3
; %bb.4:
	s_or_b64 exec, exec, s[10:11]
.LBB5_5:
	s_or_b64 exec, exec, s[8:9]
.LBB5_6:
	s_or_b64 exec, exec, s[6:7]
	v_mov_b32_e32 v4, 0
	s_waitcnt lgkmcnt(0)
	global_load_dwordx2 v[7:8], v4, s[34:35] offset:40
	global_load_dwordx4 v[0:3], v4, s[34:35]
	v_readfirstlane_b32 s7, v6
	v_readfirstlane_b32 s6, v5
	s_mov_b64 s[8:9], exec
	s_waitcnt vmcnt(1)
	v_readfirstlane_b32 s10, v7
	v_readfirstlane_b32 s11, v8
	s_and_b64 s[10:11], s[10:11], s[6:7]
	s_mul_i32 s12, s11, 24
	s_mul_hi_u32 s13, s10, 24
	s_mul_i32 s14, s10, 24
	s_add_i32 s12, s13, s12
	v_mov_b32_e32 v5, s12
	s_waitcnt vmcnt(0)
	v_add_co_u32_e32 v7, vcc, s14, v0
	v_addc_co_u32_e32 v8, vcc, v1, v5, vcc
	s_and_saveexec_b64 s[12:13], s[4:5]
	s_cbranch_execz .LBB5_8
; %bb.7:
	v_mov_b32_e32 v10, s9
	v_mov_b32_e32 v9, s8
	;; [unrolled: 1-line block ×4, first 2 shown]
	global_store_dwordx4 v[7:8], v[9:12], off offset:8
.LBB5_8:
	s_or_b64 exec, exec, s[12:13]
	s_lshl_b64 s[8:9], s[10:11], 12
	v_mov_b32_e32 v5, s9
	v_add_co_u32_e32 v2, vcc, s8, v2
	v_addc_co_u32_e32 v11, vcc, v3, v5, vcc
	v_lshlrev_b32_e32 v44, 6, v45
	s_mov_b32 s8, 0
	v_mov_b32_e32 v3, 33
	v_mov_b32_e32 v5, v4
	;; [unrolled: 1-line block ×3, first 2 shown]
	v_readfirstlane_b32 s12, v2
	v_readfirstlane_b32 s13, v11
	v_add_co_u32_e32 v9, vcc, v2, v44
	s_mov_b32 s9, s8
	s_mov_b32 s10, s8
	;; [unrolled: 1-line block ×3, first 2 shown]
	s_nop 0
	global_store_dwordx4 v44, v[3:6], s[12:13]
	v_mov_b32_e32 v2, s8
	v_addc_co_u32_e32 v10, vcc, 0, v11, vcc
	v_mov_b32_e32 v3, s9
	v_mov_b32_e32 v4, s10
	v_mov_b32_e32 v5, s11
	global_store_dwordx4 v44, v[2:5], s[12:13] offset:16
	global_store_dwordx4 v44, v[2:5], s[12:13] offset:32
	;; [unrolled: 1-line block ×3, first 2 shown]
	s_and_saveexec_b64 s[8:9], s[4:5]
	s_cbranch_execz .LBB5_16
; %bb.9:
	v_mov_b32_e32 v6, 0
	global_load_dwordx2 v[13:14], v6, s[34:35] offset:32 glc
	global_load_dwordx2 v[2:3], v6, s[34:35] offset:40
	v_mov_b32_e32 v11, s6
	v_mov_b32_e32 v12, s7
	s_waitcnt vmcnt(0)
	v_and_b32_e32 v2, s6, v2
	v_and_b32_e32 v3, s7, v3
	v_mul_lo_u32 v3, v3, 24
	v_mul_hi_u32 v4, v2, 24
	v_mul_lo_u32 v2, v2, 24
	v_add_u32_e32 v3, v4, v3
	v_add_co_u32_e32 v4, vcc, v0, v2
	v_addc_co_u32_e32 v5, vcc, v1, v3, vcc
	global_store_dwordx2 v[4:5], v[13:14], off
	s_waitcnt vmcnt(0)
	global_atomic_cmpswap_x2 v[2:3], v6, v[11:14], s[34:35] offset:32 glc
	s_waitcnt vmcnt(0)
	v_cmp_ne_u64_e32 vcc, v[2:3], v[13:14]
	s_and_saveexec_b64 s[10:11], vcc
	s_cbranch_execz .LBB5_12
; %bb.10:
	s_mov_b64 s[12:13], 0
.LBB5_11:                               ; =>This Inner Loop Header: Depth=1
	s_sleep 1
	global_store_dwordx2 v[4:5], v[2:3], off
	v_mov_b32_e32 v0, s6
	v_mov_b32_e32 v1, s7
	s_waitcnt vmcnt(0)
	global_atomic_cmpswap_x2 v[0:1], v6, v[0:3], s[34:35] offset:32 glc
	s_waitcnt vmcnt(0)
	v_cmp_eq_u64_e32 vcc, v[0:1], v[2:3]
	v_mov_b32_e32 v3, v1
	s_or_b64 s[12:13], vcc, s[12:13]
	v_mov_b32_e32 v2, v0
	s_andn2_b64 exec, exec, s[12:13]
	s_cbranch_execnz .LBB5_11
.LBB5_12:
	s_or_b64 exec, exec, s[10:11]
	v_mov_b32_e32 v3, 0
	global_load_dwordx2 v[0:1], v3, s[34:35] offset:16
	s_mov_b64 s[10:11], exec
	v_mbcnt_lo_u32_b32 v2, s10, 0
	v_mbcnt_hi_u32_b32 v2, s11, v2
	v_cmp_eq_u32_e32 vcc, 0, v2
	s_and_saveexec_b64 s[12:13], vcc
	s_cbranch_execz .LBB5_14
; %bb.13:
	s_bcnt1_i32_b64 s10, s[10:11]
	v_mov_b32_e32 v2, s10
	s_waitcnt vmcnt(0)
	global_atomic_add_x2 v[0:1], v[2:3], off offset:8
.LBB5_14:
	s_or_b64 exec, exec, s[12:13]
	s_waitcnt vmcnt(0)
	global_load_dwordx2 v[2:3], v[0:1], off offset:16
	s_waitcnt vmcnt(0)
	v_cmp_eq_u64_e32 vcc, 0, v[2:3]
	s_cbranch_vccnz .LBB5_16
; %bb.15:
	global_load_dword v0, v[0:1], off offset:24
	v_mov_b32_e32 v1, 0
	s_waitcnt vmcnt(0)
	v_readfirstlane_b32 s10, v0
	s_and_b32 m0, s10, 0xffffff
	global_store_dwordx2 v[2:3], v[0:1], off
	s_sendmsg sendmsg(MSG_INTERRUPT)
.LBB5_16:
	s_or_b64 exec, exec, s[8:9]
	s_branch .LBB5_20
.LBB5_17:                               ;   in Loop: Header=BB5_20 Depth=1
	s_or_b64 exec, exec, s[8:9]
	v_readfirstlane_b32 s8, v0
	s_cmp_eq_u32 s8, 0
	s_cbranch_scc1 .LBB5_19
; %bb.18:                               ;   in Loop: Header=BB5_20 Depth=1
	s_sleep 1
	s_cbranch_execnz .LBB5_20
	s_branch .LBB5_22
.LBB5_19:
	s_branch .LBB5_22
.LBB5_20:                               ; =>This Inner Loop Header: Depth=1
	v_mov_b32_e32 v0, 1
	s_and_saveexec_b64 s[8:9], s[4:5]
	s_cbranch_execz .LBB5_17
; %bb.21:                               ;   in Loop: Header=BB5_20 Depth=1
	global_load_dword v0, v[7:8], off offset:20 glc
	s_waitcnt vmcnt(0)
	buffer_wbinvl1_vol
	v_and_b32_e32 v0, 1, v0
	s_branch .LBB5_17
.LBB5_22:
	global_load_dwordx2 v[0:1], v[9:10], off
	s_and_saveexec_b64 s[8:9], s[4:5]
	s_cbranch_execz .LBB5_25
; %bb.23:
	v_mov_b32_e32 v8, 0
	global_load_dwordx2 v[2:3], v8, s[34:35] offset:40
	global_load_dwordx2 v[11:12], v8, s[34:35] offset:24 glc
	global_load_dwordx2 v[4:5], v8, s[34:35]
	s_waitcnt vmcnt(2)
	v_readfirstlane_b32 s10, v2
	v_readfirstlane_b32 s11, v3
	s_add_u32 s12, s10, 1
	s_addc_u32 s13, s11, 0
	s_add_u32 s4, s12, s6
	s_addc_u32 s5, s13, s7
	s_cmp_eq_u64 s[4:5], 0
	s_cselect_b32 s5, s13, s5
	s_cselect_b32 s4, s12, s4
	s_and_b64 s[6:7], s[4:5], s[10:11]
	s_mul_i32 s7, s7, 24
	s_mul_hi_u32 s10, s6, 24
	s_mul_i32 s6, s6, 24
	s_add_i32 s7, s10, s7
	v_mov_b32_e32 v2, s7
	s_waitcnt vmcnt(0)
	v_add_co_u32_e32 v6, vcc, s6, v4
	v_addc_co_u32_e32 v7, vcc, v5, v2, vcc
	v_mov_b32_e32 v9, s4
	global_store_dwordx2 v[6:7], v[11:12], off
	v_mov_b32_e32 v10, s5
	s_waitcnt vmcnt(0)
	global_atomic_cmpswap_x2 v[4:5], v8, v[9:12], s[34:35] offset:24 glc
	s_mov_b64 s[6:7], 0
	s_waitcnt vmcnt(0)
	v_cmp_ne_u64_e32 vcc, v[4:5], v[11:12]
	s_and_b64 exec, exec, vcc
	s_cbranch_execz .LBB5_25
.LBB5_24:                               ; =>This Inner Loop Header: Depth=1
	s_sleep 1
	global_store_dwordx2 v[6:7], v[4:5], off
	v_mov_b32_e32 v2, s4
	v_mov_b32_e32 v3, s5
	s_waitcnt vmcnt(0)
	global_atomic_cmpswap_x2 v[2:3], v8, v[2:5], s[34:35] offset:24 glc
	s_waitcnt vmcnt(0)
	v_cmp_eq_u64_e32 vcc, v[2:3], v[4:5]
	v_mov_b32_e32 v5, v3
	s_or_b64 s[6:7], vcc, s[6:7]
	v_mov_b32_e32 v4, v2
	s_andn2_b64 exec, exec, s[6:7]
	s_cbranch_execnz .LBB5_24
.LBB5_25:
	s_or_b64 exec, exec, s[8:9]
	s_getpc_b64 s[6:7]
	s_add_u32 s6, s6, .str@rel32@lo+4
	s_addc_u32 s7, s7, .str@rel32@hi+12
	s_cmp_lg_u64 s[6:7], 0
	s_cbranch_scc0 .LBB5_111
; %bb.26:
	s_waitcnt vmcnt(0)
	v_and_b32_e32 v6, -3, v0
	v_mov_b32_e32 v7, v1
	s_mov_b64 s[8:9], 35
	v_mov_b32_e32 v26, 0
	v_mov_b32_e32 v4, 2
	;; [unrolled: 1-line block ×3, first 2 shown]
	s_branch .LBB5_28
.LBB5_27:                               ;   in Loop: Header=BB5_28 Depth=1
	s_or_b64 exec, exec, s[14:15]
	s_sub_u32 s8, s8, s10
	s_subb_u32 s9, s9, s11
	s_add_u32 s6, s6, s10
	s_addc_u32 s7, s7, s11
	s_cmp_lg_u64 s[8:9], 0
	s_cbranch_scc0 .LBB5_110
.LBB5_28:                               ; =>This Loop Header: Depth=1
                                        ;     Child Loop BB5_31 Depth 2
                                        ;     Child Loop BB5_39 Depth 2
	;; [unrolled: 1-line block ×11, first 2 shown]
	v_cmp_lt_u64_e64 s[4:5], s[8:9], 56
	v_cmp_gt_u64_e64 s[12:13], s[8:9], 7
	s_and_b64 s[4:5], s[4:5], exec
	s_cselect_b32 s11, s9, 0
	s_cselect_b32 s10, s8, 56
	s_add_u32 s4, s6, 8
	s_addc_u32 s5, s7, 0
	s_and_b64 vcc, exec, s[12:13]
	s_cbranch_vccnz .LBB5_32
; %bb.29:                               ;   in Loop: Header=BB5_28 Depth=1
	s_cmp_eq_u64 s[8:9], 0
	s_cbranch_scc1 .LBB5_33
; %bb.30:                               ;   in Loop: Header=BB5_28 Depth=1
	s_waitcnt vmcnt(0)
	v_mov_b32_e32 v8, 0
	s_lshl_b64 s[4:5], s[10:11], 3
	s_mov_b64 s[12:13], 0
	v_mov_b32_e32 v9, 0
	s_mov_b64 s[14:15], s[6:7]
.LBB5_31:                               ;   Parent Loop BB5_28 Depth=1
                                        ; =>  This Inner Loop Header: Depth=2
	global_load_ubyte v2, v26, s[14:15]
	s_waitcnt vmcnt(0)
	v_and_b32_e32 v25, 0xffff, v2
	v_lshlrev_b64 v[2:3], s12, v[25:26]
	s_add_u32 s12, s12, 8
	s_addc_u32 s13, s13, 0
	s_add_u32 s14, s14, 1
	s_addc_u32 s15, s15, 0
	v_or_b32_e32 v8, v2, v8
	s_cmp_lg_u32 s4, s12
	v_or_b32_e32 v9, v3, v9
	s_cbranch_scc1 .LBB5_31
	s_branch .LBB5_34
.LBB5_32:                               ;   in Loop: Header=BB5_28 Depth=1
	s_mov_b32 s16, 0
	s_branch .LBB5_35
.LBB5_33:                               ;   in Loop: Header=BB5_28 Depth=1
	s_waitcnt vmcnt(0)
	v_mov_b32_e32 v8, 0
	v_mov_b32_e32 v9, 0
.LBB5_34:                               ;   in Loop: Header=BB5_28 Depth=1
	s_mov_b64 s[4:5], s[6:7]
	s_mov_b32 s16, 0
	s_cbranch_execnz .LBB5_36
.LBB5_35:                               ;   in Loop: Header=BB5_28 Depth=1
	global_load_dwordx2 v[8:9], v26, s[6:7]
	s_add_i32 s16, s10, -8
.LBB5_36:                               ;   in Loop: Header=BB5_28 Depth=1
	s_add_u32 s12, s4, 8
	s_addc_u32 s13, s5, 0
	s_cmp_gt_u32 s16, 7
	s_cbranch_scc1 .LBB5_40
; %bb.37:                               ;   in Loop: Header=BB5_28 Depth=1
	s_cmp_eq_u32 s16, 0
	s_cbranch_scc1 .LBB5_41
; %bb.38:                               ;   in Loop: Header=BB5_28 Depth=1
	v_mov_b32_e32 v10, 0
	s_mov_b64 s[12:13], 0
	v_mov_b32_e32 v11, 0
	s_mov_b64 s[14:15], 0
.LBB5_39:                               ;   Parent Loop BB5_28 Depth=1
                                        ; =>  This Inner Loop Header: Depth=2
	s_add_u32 s18, s4, s14
	s_addc_u32 s19, s5, s15
	global_load_ubyte v2, v26, s[18:19]
	s_add_u32 s14, s14, 1
	s_addc_u32 s15, s15, 0
	s_waitcnt vmcnt(0)
	v_and_b32_e32 v25, 0xffff, v2
	v_lshlrev_b64 v[2:3], s12, v[25:26]
	s_add_u32 s12, s12, 8
	s_addc_u32 s13, s13, 0
	v_or_b32_e32 v10, v2, v10
	s_cmp_lg_u32 s16, s14
	v_or_b32_e32 v11, v3, v11
	s_cbranch_scc1 .LBB5_39
	s_branch .LBB5_42
.LBB5_40:                               ;   in Loop: Header=BB5_28 Depth=1
                                        ; implicit-def: $vgpr10_vgpr11
	s_mov_b32 s17, 0
	s_branch .LBB5_43
.LBB5_41:                               ;   in Loop: Header=BB5_28 Depth=1
	v_mov_b32_e32 v10, 0
	v_mov_b32_e32 v11, 0
.LBB5_42:                               ;   in Loop: Header=BB5_28 Depth=1
	s_mov_b64 s[12:13], s[4:5]
	s_mov_b32 s17, 0
	s_cbranch_execnz .LBB5_44
.LBB5_43:                               ;   in Loop: Header=BB5_28 Depth=1
	global_load_dwordx2 v[10:11], v26, s[4:5]
	s_add_i32 s17, s16, -8
.LBB5_44:                               ;   in Loop: Header=BB5_28 Depth=1
	s_add_u32 s4, s12, 8
	s_addc_u32 s5, s13, 0
	s_cmp_gt_u32 s17, 7
	s_cbranch_scc1 .LBB5_48
; %bb.45:                               ;   in Loop: Header=BB5_28 Depth=1
	s_cmp_eq_u32 s17, 0
	s_cbranch_scc1 .LBB5_49
; %bb.46:                               ;   in Loop: Header=BB5_28 Depth=1
	v_mov_b32_e32 v12, 0
	s_mov_b64 s[4:5], 0
	v_mov_b32_e32 v13, 0
	s_mov_b64 s[14:15], 0
.LBB5_47:                               ;   Parent Loop BB5_28 Depth=1
                                        ; =>  This Inner Loop Header: Depth=2
	s_add_u32 s18, s12, s14
	s_addc_u32 s19, s13, s15
	global_load_ubyte v2, v26, s[18:19]
	s_add_u32 s14, s14, 1
	s_addc_u32 s15, s15, 0
	s_waitcnt vmcnt(0)
	v_and_b32_e32 v25, 0xffff, v2
	v_lshlrev_b64 v[2:3], s4, v[25:26]
	s_add_u32 s4, s4, 8
	s_addc_u32 s5, s5, 0
	v_or_b32_e32 v12, v2, v12
	s_cmp_lg_u32 s17, s14
	v_or_b32_e32 v13, v3, v13
	s_cbranch_scc1 .LBB5_47
	s_branch .LBB5_50
.LBB5_48:                               ;   in Loop: Header=BB5_28 Depth=1
	s_mov_b32 s16, 0
	s_branch .LBB5_51
.LBB5_49:                               ;   in Loop: Header=BB5_28 Depth=1
	v_mov_b32_e32 v12, 0
	v_mov_b32_e32 v13, 0
.LBB5_50:                               ;   in Loop: Header=BB5_28 Depth=1
	s_mov_b64 s[4:5], s[12:13]
	s_mov_b32 s16, 0
	s_cbranch_execnz .LBB5_52
.LBB5_51:                               ;   in Loop: Header=BB5_28 Depth=1
	global_load_dwordx2 v[12:13], v26, s[12:13]
	s_add_i32 s16, s17, -8
.LBB5_52:                               ;   in Loop: Header=BB5_28 Depth=1
	s_add_u32 s12, s4, 8
	s_addc_u32 s13, s5, 0
	s_cmp_gt_u32 s16, 7
	s_cbranch_scc1 .LBB5_56
; %bb.53:                               ;   in Loop: Header=BB5_28 Depth=1
	s_cmp_eq_u32 s16, 0
	s_cbranch_scc1 .LBB5_57
; %bb.54:                               ;   in Loop: Header=BB5_28 Depth=1
	v_mov_b32_e32 v14, 0
	s_mov_b64 s[12:13], 0
	v_mov_b32_e32 v15, 0
	s_mov_b64 s[14:15], 0
.LBB5_55:                               ;   Parent Loop BB5_28 Depth=1
                                        ; =>  This Inner Loop Header: Depth=2
	s_add_u32 s18, s4, s14
	s_addc_u32 s19, s5, s15
	global_load_ubyte v2, v26, s[18:19]
	s_add_u32 s14, s14, 1
	s_addc_u32 s15, s15, 0
	s_waitcnt vmcnt(0)
	v_and_b32_e32 v25, 0xffff, v2
	v_lshlrev_b64 v[2:3], s12, v[25:26]
	s_add_u32 s12, s12, 8
	s_addc_u32 s13, s13, 0
	v_or_b32_e32 v14, v2, v14
	s_cmp_lg_u32 s16, s14
	v_or_b32_e32 v15, v3, v15
	s_cbranch_scc1 .LBB5_55
	s_branch .LBB5_58
.LBB5_56:                               ;   in Loop: Header=BB5_28 Depth=1
                                        ; implicit-def: $vgpr14_vgpr15
	s_mov_b32 s17, 0
	s_branch .LBB5_59
.LBB5_57:                               ;   in Loop: Header=BB5_28 Depth=1
	v_mov_b32_e32 v14, 0
	v_mov_b32_e32 v15, 0
.LBB5_58:                               ;   in Loop: Header=BB5_28 Depth=1
	s_mov_b64 s[12:13], s[4:5]
	s_mov_b32 s17, 0
	s_cbranch_execnz .LBB5_60
.LBB5_59:                               ;   in Loop: Header=BB5_28 Depth=1
	global_load_dwordx2 v[14:15], v26, s[4:5]
	s_add_i32 s17, s16, -8
.LBB5_60:                               ;   in Loop: Header=BB5_28 Depth=1
	s_add_u32 s4, s12, 8
	s_addc_u32 s5, s13, 0
	s_cmp_gt_u32 s17, 7
	s_cbranch_scc1 .LBB5_64
; %bb.61:                               ;   in Loop: Header=BB5_28 Depth=1
	s_cmp_eq_u32 s17, 0
	s_cbranch_scc1 .LBB5_65
; %bb.62:                               ;   in Loop: Header=BB5_28 Depth=1
	v_mov_b32_e32 v16, 0
	s_mov_b64 s[4:5], 0
	v_mov_b32_e32 v17, 0
	s_mov_b64 s[14:15], 0
.LBB5_63:                               ;   Parent Loop BB5_28 Depth=1
                                        ; =>  This Inner Loop Header: Depth=2
	s_add_u32 s18, s12, s14
	s_addc_u32 s19, s13, s15
	global_load_ubyte v2, v26, s[18:19]
	s_add_u32 s14, s14, 1
	s_addc_u32 s15, s15, 0
	s_waitcnt vmcnt(0)
	v_and_b32_e32 v25, 0xffff, v2
	v_lshlrev_b64 v[2:3], s4, v[25:26]
	s_add_u32 s4, s4, 8
	s_addc_u32 s5, s5, 0
	v_or_b32_e32 v16, v2, v16
	s_cmp_lg_u32 s17, s14
	v_or_b32_e32 v17, v3, v17
	s_cbranch_scc1 .LBB5_63
	s_branch .LBB5_66
.LBB5_64:                               ;   in Loop: Header=BB5_28 Depth=1
	s_mov_b32 s16, 0
	s_branch .LBB5_67
.LBB5_65:                               ;   in Loop: Header=BB5_28 Depth=1
	v_mov_b32_e32 v16, 0
	v_mov_b32_e32 v17, 0
.LBB5_66:                               ;   in Loop: Header=BB5_28 Depth=1
	s_mov_b64 s[4:5], s[12:13]
	s_mov_b32 s16, 0
	s_cbranch_execnz .LBB5_68
.LBB5_67:                               ;   in Loop: Header=BB5_28 Depth=1
	global_load_dwordx2 v[16:17], v26, s[12:13]
	s_add_i32 s16, s17, -8
.LBB5_68:                               ;   in Loop: Header=BB5_28 Depth=1
	s_add_u32 s12, s4, 8
	s_addc_u32 s13, s5, 0
	s_cmp_gt_u32 s16, 7
	s_cbranch_scc1 .LBB5_72
; %bb.69:                               ;   in Loop: Header=BB5_28 Depth=1
	s_cmp_eq_u32 s16, 0
	s_cbranch_scc1 .LBB5_73
; %bb.70:                               ;   in Loop: Header=BB5_28 Depth=1
	v_mov_b32_e32 v18, 0
	s_mov_b64 s[12:13], 0
	v_mov_b32_e32 v19, 0
	s_mov_b64 s[14:15], 0
.LBB5_71:                               ;   Parent Loop BB5_28 Depth=1
                                        ; =>  This Inner Loop Header: Depth=2
	s_add_u32 s18, s4, s14
	s_addc_u32 s19, s5, s15
	global_load_ubyte v2, v26, s[18:19]
	s_add_u32 s14, s14, 1
	s_addc_u32 s15, s15, 0
	s_waitcnt vmcnt(0)
	v_and_b32_e32 v25, 0xffff, v2
	v_lshlrev_b64 v[2:3], s12, v[25:26]
	s_add_u32 s12, s12, 8
	s_addc_u32 s13, s13, 0
	v_or_b32_e32 v18, v2, v18
	s_cmp_lg_u32 s16, s14
	v_or_b32_e32 v19, v3, v19
	s_cbranch_scc1 .LBB5_71
	s_branch .LBB5_74
.LBB5_72:                               ;   in Loop: Header=BB5_28 Depth=1
                                        ; implicit-def: $vgpr18_vgpr19
	s_mov_b32 s17, 0
	s_branch .LBB5_75
.LBB5_73:                               ;   in Loop: Header=BB5_28 Depth=1
	v_mov_b32_e32 v18, 0
	v_mov_b32_e32 v19, 0
.LBB5_74:                               ;   in Loop: Header=BB5_28 Depth=1
	s_mov_b64 s[12:13], s[4:5]
	s_mov_b32 s17, 0
	s_cbranch_execnz .LBB5_76
.LBB5_75:                               ;   in Loop: Header=BB5_28 Depth=1
	global_load_dwordx2 v[18:19], v26, s[4:5]
	s_add_i32 s17, s16, -8
.LBB5_76:                               ;   in Loop: Header=BB5_28 Depth=1
	s_cmp_gt_u32 s17, 7
	s_cbranch_scc1 .LBB5_80
; %bb.77:                               ;   in Loop: Header=BB5_28 Depth=1
	s_cmp_eq_u32 s17, 0
	s_cbranch_scc1 .LBB5_81
; %bb.78:                               ;   in Loop: Header=BB5_28 Depth=1
	v_mov_b32_e32 v20, 0
	s_mov_b64 s[4:5], 0
	v_mov_b32_e32 v21, 0
	s_mov_b64 s[14:15], s[12:13]
.LBB5_79:                               ;   Parent Loop BB5_28 Depth=1
                                        ; =>  This Inner Loop Header: Depth=2
	global_load_ubyte v2, v26, s[14:15]
	s_add_i32 s17, s17, -1
	s_waitcnt vmcnt(0)
	v_and_b32_e32 v25, 0xffff, v2
	v_lshlrev_b64 v[2:3], s4, v[25:26]
	s_add_u32 s4, s4, 8
	s_addc_u32 s5, s5, 0
	s_add_u32 s14, s14, 1
	s_addc_u32 s15, s15, 0
	v_or_b32_e32 v20, v2, v20
	s_cmp_lg_u32 s17, 0
	v_or_b32_e32 v21, v3, v21
	s_cbranch_scc1 .LBB5_79
	s_branch .LBB5_82
.LBB5_80:                               ;   in Loop: Header=BB5_28 Depth=1
	s_branch .LBB5_83
.LBB5_81:                               ;   in Loop: Header=BB5_28 Depth=1
	v_mov_b32_e32 v20, 0
	v_mov_b32_e32 v21, 0
.LBB5_82:                               ;   in Loop: Header=BB5_28 Depth=1
	s_cbranch_execnz .LBB5_84
.LBB5_83:                               ;   in Loop: Header=BB5_28 Depth=1
	global_load_dwordx2 v[20:21], v26, s[12:13]
.LBB5_84:                               ;   in Loop: Header=BB5_28 Depth=1
	v_readfirstlane_b32 s4, v45
	v_mov_b32_e32 v2, 0
	v_mov_b32_e32 v3, 0
	v_cmp_eq_u32_e64 s[4:5], s4, v45
	s_and_saveexec_b64 s[12:13], s[4:5]
	s_cbranch_execz .LBB5_90
; %bb.85:                               ;   in Loop: Header=BB5_28 Depth=1
	global_load_dwordx2 v[24:25], v26, s[34:35] offset:24 glc
	s_waitcnt vmcnt(0)
	buffer_wbinvl1_vol
	global_load_dwordx2 v[2:3], v26, s[34:35] offset:40
	global_load_dwordx2 v[22:23], v26, s[34:35]
	s_waitcnt vmcnt(1)
	v_and_b32_e32 v2, v2, v24
	v_and_b32_e32 v3, v3, v25
	v_mul_lo_u32 v3, v3, 24
	v_mul_hi_u32 v27, v2, 24
	v_mul_lo_u32 v2, v2, 24
	v_add_u32_e32 v3, v27, v3
	s_waitcnt vmcnt(0)
	v_add_co_u32_e32 v2, vcc, v22, v2
	v_addc_co_u32_e32 v3, vcc, v23, v3, vcc
	global_load_dwordx2 v[22:23], v[2:3], off glc
	s_waitcnt vmcnt(0)
	global_atomic_cmpswap_x2 v[2:3], v26, v[22:25], s[34:35] offset:24 glc
	s_waitcnt vmcnt(0)
	buffer_wbinvl1_vol
	v_cmp_ne_u64_e32 vcc, v[2:3], v[24:25]
	s_and_saveexec_b64 s[14:15], vcc
	s_cbranch_execz .LBB5_89
; %bb.86:                               ;   in Loop: Header=BB5_28 Depth=1
	s_mov_b64 s[16:17], 0
.LBB5_87:                               ;   Parent Loop BB5_28 Depth=1
                                        ; =>  This Inner Loop Header: Depth=2
	s_sleep 1
	global_load_dwordx2 v[22:23], v26, s[34:35] offset:40
	global_load_dwordx2 v[27:28], v26, s[34:35]
	v_mov_b32_e32 v25, v3
	v_mov_b32_e32 v24, v2
	s_waitcnt vmcnt(1)
	v_and_b32_e32 v2, v22, v24
	s_waitcnt vmcnt(0)
	v_mad_u64_u32 v[2:3], s[18:19], v2, 24, v[27:28]
	v_and_b32_e32 v22, v23, v25
	v_mad_u64_u32 v[22:23], s[18:19], v22, 24, v[3:4]
	v_mov_b32_e32 v3, v22
	global_load_dwordx2 v[22:23], v[2:3], off glc
	s_waitcnt vmcnt(0)
	global_atomic_cmpswap_x2 v[2:3], v26, v[22:25], s[34:35] offset:24 glc
	s_waitcnt vmcnt(0)
	buffer_wbinvl1_vol
	v_cmp_eq_u64_e32 vcc, v[2:3], v[24:25]
	s_or_b64 s[16:17], vcc, s[16:17]
	s_andn2_b64 exec, exec, s[16:17]
	s_cbranch_execnz .LBB5_87
; %bb.88:                               ;   in Loop: Header=BB5_28 Depth=1
	s_or_b64 exec, exec, s[16:17]
.LBB5_89:                               ;   in Loop: Header=BB5_28 Depth=1
	s_or_b64 exec, exec, s[14:15]
.LBB5_90:                               ;   in Loop: Header=BB5_28 Depth=1
	s_or_b64 exec, exec, s[12:13]
	global_load_dwordx2 v[27:28], v26, s[34:35] offset:40
	global_load_dwordx4 v[22:25], v26, s[34:35]
	v_readfirstlane_b32 s13, v3
	v_readfirstlane_b32 s12, v2
	s_mov_b64 s[14:15], exec
	s_waitcnt vmcnt(1)
	v_readfirstlane_b32 s16, v27
	v_readfirstlane_b32 s17, v28
	s_and_b64 s[16:17], s[16:17], s[12:13]
	s_mul_i32 s18, s17, 24
	s_mul_hi_u32 s19, s16, 24
	s_mul_i32 s20, s16, 24
	s_add_i32 s18, s19, s18
	v_mov_b32_e32 v2, s18
	s_waitcnt vmcnt(0)
	v_add_co_u32_e32 v27, vcc, s20, v22
	v_addc_co_u32_e32 v28, vcc, v23, v2, vcc
	s_and_saveexec_b64 s[18:19], s[4:5]
	s_cbranch_execz .LBB5_92
; %bb.91:                               ;   in Loop: Header=BB5_28 Depth=1
	v_mov_b32_e32 v2, s14
	v_mov_b32_e32 v3, s15
	global_store_dwordx4 v[27:28], v[2:5], off offset:8
.LBB5_92:                               ;   in Loop: Header=BB5_28 Depth=1
	s_or_b64 exec, exec, s[18:19]
	s_lshl_b64 s[14:15], s[16:17], 12
	v_cmp_gt_u64_e64 s[16:17], s[8:9], 56
	v_mov_b32_e32 v2, s15
	v_add_co_u32_e32 v24, vcc, s14, v24
	s_and_b64 s[14:15], s[16:17], exec
	s_cselect_b32 s14, 0, 2
	s_lshl_b32 s15, s10, 2
	v_addc_co_u32_e32 v29, vcc, v25, v2, vcc
	s_add_i32 s15, s15, 28
	v_and_b32_e32 v2, 0xffffff1f, v6
	s_and_b32 s15, s15, 0x1e0
	v_or_b32_e32 v2, s14, v2
	v_or_b32_e32 v6, s15, v2
	v_readfirstlane_b32 s14, v24
	v_readfirstlane_b32 s15, v29
	s_nop 4
	global_store_dwordx4 v44, v[6:9], s[14:15]
	global_store_dwordx4 v44, v[10:13], s[14:15] offset:16
	global_store_dwordx4 v44, v[14:17], s[14:15] offset:32
	;; [unrolled: 1-line block ×3, first 2 shown]
	s_and_saveexec_b64 s[14:15], s[4:5]
	s_cbranch_execz .LBB5_100
; %bb.93:                               ;   in Loop: Header=BB5_28 Depth=1
	global_load_dwordx2 v[10:11], v26, s[34:35] offset:32 glc
	global_load_dwordx2 v[2:3], v26, s[34:35] offset:40
	v_mov_b32_e32 v8, s12
	v_mov_b32_e32 v9, s13
	s_waitcnt vmcnt(0)
	v_readfirstlane_b32 s16, v2
	v_readfirstlane_b32 s17, v3
	s_and_b64 s[16:17], s[16:17], s[12:13]
	s_mul_i32 s17, s17, 24
	s_mul_hi_u32 s18, s16, 24
	s_mul_i32 s16, s16, 24
	s_add_i32 s17, s18, s17
	v_mov_b32_e32 v3, s17
	v_add_co_u32_e32 v2, vcc, s16, v22
	v_addc_co_u32_e32 v3, vcc, v23, v3, vcc
	global_store_dwordx2 v[2:3], v[10:11], off
	s_waitcnt vmcnt(0)
	global_atomic_cmpswap_x2 v[8:9], v26, v[8:11], s[34:35] offset:32 glc
	s_waitcnt vmcnt(0)
	v_cmp_ne_u64_e32 vcc, v[8:9], v[10:11]
	s_and_saveexec_b64 s[16:17], vcc
	s_cbranch_execz .LBB5_96
; %bb.94:                               ;   in Loop: Header=BB5_28 Depth=1
	s_mov_b64 s[18:19], 0
.LBB5_95:                               ;   Parent Loop BB5_28 Depth=1
                                        ; =>  This Inner Loop Header: Depth=2
	s_sleep 1
	global_store_dwordx2 v[2:3], v[8:9], off
	v_mov_b32_e32 v6, s12
	v_mov_b32_e32 v7, s13
	s_waitcnt vmcnt(0)
	global_atomic_cmpswap_x2 v[6:7], v26, v[6:9], s[34:35] offset:32 glc
	s_waitcnt vmcnt(0)
	v_cmp_eq_u64_e32 vcc, v[6:7], v[8:9]
	v_mov_b32_e32 v9, v7
	s_or_b64 s[18:19], vcc, s[18:19]
	v_mov_b32_e32 v8, v6
	s_andn2_b64 exec, exec, s[18:19]
	s_cbranch_execnz .LBB5_95
.LBB5_96:                               ;   in Loop: Header=BB5_28 Depth=1
	s_or_b64 exec, exec, s[16:17]
	global_load_dwordx2 v[2:3], v26, s[34:35] offset:16
	s_mov_b64 s[18:19], exec
	v_mbcnt_lo_u32_b32 v6, s18, 0
	v_mbcnt_hi_u32_b32 v6, s19, v6
	v_cmp_eq_u32_e32 vcc, 0, v6
	s_and_saveexec_b64 s[16:17], vcc
	s_cbranch_execz .LBB5_98
; %bb.97:                               ;   in Loop: Header=BB5_28 Depth=1
	s_bcnt1_i32_b64 s18, s[18:19]
	v_mov_b32_e32 v25, s18
	s_waitcnt vmcnt(0)
	global_atomic_add_x2 v[2:3], v[25:26], off offset:8
.LBB5_98:                               ;   in Loop: Header=BB5_28 Depth=1
	s_or_b64 exec, exec, s[16:17]
	s_waitcnt vmcnt(0)
	global_load_dwordx2 v[6:7], v[2:3], off offset:16
	s_waitcnt vmcnt(0)
	v_cmp_eq_u64_e32 vcc, 0, v[6:7]
	s_cbranch_vccnz .LBB5_100
; %bb.99:                               ;   in Loop: Header=BB5_28 Depth=1
	global_load_dword v25, v[2:3], off offset:24
	s_waitcnt vmcnt(0)
	v_readfirstlane_b32 s16, v25
	s_and_b32 m0, s16, 0xffffff
	global_store_dwordx2 v[6:7], v[25:26], off
	s_sendmsg sendmsg(MSG_INTERRUPT)
.LBB5_100:                              ;   in Loop: Header=BB5_28 Depth=1
	s_or_b64 exec, exec, s[14:15]
	v_add_co_u32_e32 v2, vcc, v24, v44
	v_addc_co_u32_e32 v3, vcc, 0, v29, vcc
	s_branch .LBB5_104
.LBB5_101:                              ;   in Loop: Header=BB5_104 Depth=2
	s_or_b64 exec, exec, s[14:15]
	v_readfirstlane_b32 s14, v6
	s_cmp_eq_u32 s14, 0
	s_cbranch_scc1 .LBB5_103
; %bb.102:                              ;   in Loop: Header=BB5_104 Depth=2
	s_sleep 1
	s_cbranch_execnz .LBB5_104
	s_branch .LBB5_106
.LBB5_103:                              ;   in Loop: Header=BB5_28 Depth=1
	s_branch .LBB5_106
.LBB5_104:                              ;   Parent Loop BB5_28 Depth=1
                                        ; =>  This Inner Loop Header: Depth=2
	v_mov_b32_e32 v6, 1
	s_and_saveexec_b64 s[14:15], s[4:5]
	s_cbranch_execz .LBB5_101
; %bb.105:                              ;   in Loop: Header=BB5_104 Depth=2
	global_load_dword v6, v[27:28], off offset:20 glc
	s_waitcnt vmcnt(0)
	buffer_wbinvl1_vol
	v_and_b32_e32 v6, 1, v6
	s_branch .LBB5_101
.LBB5_106:                              ;   in Loop: Header=BB5_28 Depth=1
	global_load_dwordx4 v[6:9], v[2:3], off
	s_and_saveexec_b64 s[14:15], s[4:5]
	s_cbranch_execz .LBB5_27
; %bb.107:                              ;   in Loop: Header=BB5_28 Depth=1
	global_load_dwordx2 v[2:3], v26, s[34:35] offset:40
	global_load_dwordx2 v[12:13], v26, s[34:35] offset:24 glc
	global_load_dwordx2 v[8:9], v26, s[34:35]
	s_waitcnt vmcnt(2)
	v_readfirstlane_b32 s16, v2
	v_readfirstlane_b32 s17, v3
	s_add_u32 s18, s16, 1
	s_addc_u32 s19, s17, 0
	s_add_u32 s4, s18, s12
	s_addc_u32 s5, s19, s13
	s_cmp_eq_u64 s[4:5], 0
	s_cselect_b32 s5, s19, s5
	s_cselect_b32 s4, s18, s4
	s_and_b64 s[12:13], s[4:5], s[16:17]
	s_mul_i32 s13, s13, 24
	s_mul_hi_u32 s16, s12, 24
	s_mul_i32 s12, s12, 24
	s_add_i32 s13, s16, s13
	v_mov_b32_e32 v3, s13
	s_waitcnt vmcnt(0)
	v_add_co_u32_e32 v2, vcc, s12, v8
	v_addc_co_u32_e32 v3, vcc, v9, v3, vcc
	v_mov_b32_e32 v10, s4
	global_store_dwordx2 v[2:3], v[12:13], off
	v_mov_b32_e32 v11, s5
	s_waitcnt vmcnt(0)
	global_atomic_cmpswap_x2 v[10:11], v26, v[10:13], s[34:35] offset:24 glc
	s_waitcnt vmcnt(0)
	v_cmp_ne_u64_e32 vcc, v[10:11], v[12:13]
	s_and_b64 exec, exec, vcc
	s_cbranch_execz .LBB5_27
; %bb.108:                              ;   in Loop: Header=BB5_28 Depth=1
	s_mov_b64 s[12:13], 0
.LBB5_109:                              ;   Parent Loop BB5_28 Depth=1
                                        ; =>  This Inner Loop Header: Depth=2
	s_sleep 1
	global_store_dwordx2 v[2:3], v[10:11], off
	v_mov_b32_e32 v8, s4
	v_mov_b32_e32 v9, s5
	s_waitcnt vmcnt(0)
	global_atomic_cmpswap_x2 v[8:9], v26, v[8:11], s[34:35] offset:24 glc
	s_waitcnt vmcnt(0)
	v_cmp_eq_u64_e32 vcc, v[8:9], v[10:11]
	v_mov_b32_e32 v11, v9
	s_or_b64 s[12:13], vcc, s[12:13]
	v_mov_b32_e32 v10, v8
	s_andn2_b64 exec, exec, s[12:13]
	s_cbranch_execnz .LBB5_109
	s_branch .LBB5_27
.LBB5_110:
	s_branch .LBB5_138
.LBB5_111:
	s_cbranch_execz .LBB5_138
; %bb.112:
	v_readfirstlane_b32 s4, v45
	s_waitcnt vmcnt(0)
	v_mov_b32_e32 v8, 0
	v_mov_b32_e32 v9, 0
	v_cmp_eq_u32_e64 s[4:5], s4, v45
	s_and_saveexec_b64 s[6:7], s[4:5]
	s_cbranch_execz .LBB5_118
; %bb.113:
	v_mov_b32_e32 v2, 0
	global_load_dwordx2 v[5:6], v2, s[34:35] offset:24 glc
	s_waitcnt vmcnt(0)
	buffer_wbinvl1_vol
	global_load_dwordx2 v[3:4], v2, s[34:35] offset:40
	global_load_dwordx2 v[7:8], v2, s[34:35]
	s_waitcnt vmcnt(1)
	v_and_b32_e32 v3, v3, v5
	v_and_b32_e32 v4, v4, v6
	v_mul_lo_u32 v4, v4, 24
	v_mul_hi_u32 v9, v3, 24
	v_mul_lo_u32 v3, v3, 24
	v_add_u32_e32 v4, v9, v4
	s_waitcnt vmcnt(0)
	v_add_co_u32_e32 v3, vcc, v7, v3
	v_addc_co_u32_e32 v4, vcc, v8, v4, vcc
	global_load_dwordx2 v[3:4], v[3:4], off glc
	s_waitcnt vmcnt(0)
	global_atomic_cmpswap_x2 v[8:9], v2, v[3:6], s[34:35] offset:24 glc
	s_waitcnt vmcnt(0)
	buffer_wbinvl1_vol
	v_cmp_ne_u64_e32 vcc, v[8:9], v[5:6]
	s_and_saveexec_b64 s[8:9], vcc
	s_cbranch_execz .LBB5_117
; %bb.114:
	s_mov_b64 s[10:11], 0
.LBB5_115:                              ; =>This Inner Loop Header: Depth=1
	s_sleep 1
	global_load_dwordx2 v[3:4], v2, s[34:35] offset:40
	global_load_dwordx2 v[10:11], v2, s[34:35]
	v_mov_b32_e32 v5, v8
	v_mov_b32_e32 v6, v9
	s_waitcnt vmcnt(1)
	v_and_b32_e32 v3, v3, v5
	s_waitcnt vmcnt(0)
	v_mad_u64_u32 v[7:8], s[12:13], v3, 24, v[10:11]
	v_and_b32_e32 v4, v4, v6
	v_mov_b32_e32 v3, v8
	v_mad_u64_u32 v[3:4], s[12:13], v4, 24, v[3:4]
	v_mov_b32_e32 v8, v3
	global_load_dwordx2 v[3:4], v[7:8], off glc
	s_waitcnt vmcnt(0)
	global_atomic_cmpswap_x2 v[8:9], v2, v[3:6], s[34:35] offset:24 glc
	s_waitcnt vmcnt(0)
	buffer_wbinvl1_vol
	v_cmp_eq_u64_e32 vcc, v[8:9], v[5:6]
	s_or_b64 s[10:11], vcc, s[10:11]
	s_andn2_b64 exec, exec, s[10:11]
	s_cbranch_execnz .LBB5_115
; %bb.116:
	s_or_b64 exec, exec, s[10:11]
.LBB5_117:
	s_or_b64 exec, exec, s[8:9]
.LBB5_118:
	s_or_b64 exec, exec, s[6:7]
	v_mov_b32_e32 v2, 0
	global_load_dwordx2 v[10:11], v2, s[34:35] offset:40
	global_load_dwordx4 v[4:7], v2, s[34:35]
	v_readfirstlane_b32 s7, v9
	v_readfirstlane_b32 s6, v8
	s_mov_b64 s[8:9], exec
	s_waitcnt vmcnt(1)
	v_readfirstlane_b32 s10, v10
	v_readfirstlane_b32 s11, v11
	s_and_b64 s[10:11], s[10:11], s[6:7]
	s_mul_i32 s12, s11, 24
	s_mul_hi_u32 s13, s10, 24
	s_mul_i32 s14, s10, 24
	s_add_i32 s12, s13, s12
	v_mov_b32_e32 v3, s12
	s_waitcnt vmcnt(0)
	v_add_co_u32_e32 v8, vcc, s14, v4
	v_addc_co_u32_e32 v9, vcc, v5, v3, vcc
	s_and_saveexec_b64 s[12:13], s[4:5]
	s_cbranch_execz .LBB5_120
; %bb.119:
	v_mov_b32_e32 v11, s9
	v_mov_b32_e32 v10, s8
	v_mov_b32_e32 v12, 2
	v_mov_b32_e32 v13, 1
	global_store_dwordx4 v[8:9], v[10:13], off offset:8
.LBB5_120:
	s_or_b64 exec, exec, s[12:13]
	s_lshl_b64 s[8:9], s[10:11], 12
	v_mov_b32_e32 v3, s9
	v_add_co_u32_e32 v6, vcc, s8, v6
	v_addc_co_u32_e32 v7, vcc, v7, v3, vcc
	s_movk_i32 s8, 0xff1d
	v_and_or_b32 v0, v0, s8, 34
	s_mov_b32 s8, 0
	v_mov_b32_e32 v3, v2
	v_readfirstlane_b32 s12, v6
	v_readfirstlane_b32 s13, v7
	s_mov_b32 s9, s8
	s_mov_b32 s10, s8
	;; [unrolled: 1-line block ×3, first 2 shown]
	s_nop 1
	global_store_dwordx4 v44, v[0:3], s[12:13]
	s_nop 0
	v_mov_b32_e32 v0, s8
	v_mov_b32_e32 v1, s9
	;; [unrolled: 1-line block ×4, first 2 shown]
	global_store_dwordx4 v44, v[0:3], s[12:13] offset:16
	global_store_dwordx4 v44, v[0:3], s[12:13] offset:32
	;; [unrolled: 1-line block ×3, first 2 shown]
	s_and_saveexec_b64 s[8:9], s[4:5]
	s_cbranch_execz .LBB5_128
; %bb.121:
	v_mov_b32_e32 v6, 0
	global_load_dwordx2 v[12:13], v6, s[34:35] offset:32 glc
	global_load_dwordx2 v[0:1], v6, s[34:35] offset:40
	v_mov_b32_e32 v10, s6
	v_mov_b32_e32 v11, s7
	s_waitcnt vmcnt(0)
	v_readfirstlane_b32 s10, v0
	v_readfirstlane_b32 s11, v1
	s_and_b64 s[10:11], s[10:11], s[6:7]
	s_mul_i32 s11, s11, 24
	s_mul_hi_u32 s12, s10, 24
	s_mul_i32 s10, s10, 24
	s_add_i32 s11, s12, s11
	v_mov_b32_e32 v0, s11
	v_add_co_u32_e32 v4, vcc, s10, v4
	v_addc_co_u32_e32 v5, vcc, v5, v0, vcc
	global_store_dwordx2 v[4:5], v[12:13], off
	s_waitcnt vmcnt(0)
	global_atomic_cmpswap_x2 v[2:3], v6, v[10:13], s[34:35] offset:32 glc
	s_waitcnt vmcnt(0)
	v_cmp_ne_u64_e32 vcc, v[2:3], v[12:13]
	s_and_saveexec_b64 s[10:11], vcc
	s_cbranch_execz .LBB5_124
; %bb.122:
	s_mov_b64 s[12:13], 0
.LBB5_123:                              ; =>This Inner Loop Header: Depth=1
	s_sleep 1
	global_store_dwordx2 v[4:5], v[2:3], off
	v_mov_b32_e32 v0, s6
	v_mov_b32_e32 v1, s7
	s_waitcnt vmcnt(0)
	global_atomic_cmpswap_x2 v[0:1], v6, v[0:3], s[34:35] offset:32 glc
	s_waitcnt vmcnt(0)
	v_cmp_eq_u64_e32 vcc, v[0:1], v[2:3]
	v_mov_b32_e32 v3, v1
	s_or_b64 s[12:13], vcc, s[12:13]
	v_mov_b32_e32 v2, v0
	s_andn2_b64 exec, exec, s[12:13]
	s_cbranch_execnz .LBB5_123
.LBB5_124:
	s_or_b64 exec, exec, s[10:11]
	v_mov_b32_e32 v3, 0
	global_load_dwordx2 v[0:1], v3, s[34:35] offset:16
	s_mov_b64 s[10:11], exec
	v_mbcnt_lo_u32_b32 v2, s10, 0
	v_mbcnt_hi_u32_b32 v2, s11, v2
	v_cmp_eq_u32_e32 vcc, 0, v2
	s_and_saveexec_b64 s[12:13], vcc
	s_cbranch_execz .LBB5_126
; %bb.125:
	s_bcnt1_i32_b64 s10, s[10:11]
	v_mov_b32_e32 v2, s10
	s_waitcnt vmcnt(0)
	global_atomic_add_x2 v[0:1], v[2:3], off offset:8
.LBB5_126:
	s_or_b64 exec, exec, s[12:13]
	s_waitcnt vmcnt(0)
	global_load_dwordx2 v[2:3], v[0:1], off offset:16
	s_waitcnt vmcnt(0)
	v_cmp_eq_u64_e32 vcc, 0, v[2:3]
	s_cbranch_vccnz .LBB5_128
; %bb.127:
	global_load_dword v0, v[0:1], off offset:24
	v_mov_b32_e32 v1, 0
	s_waitcnt vmcnt(0)
	v_readfirstlane_b32 s10, v0
	s_and_b32 m0, s10, 0xffffff
	global_store_dwordx2 v[2:3], v[0:1], off
	s_sendmsg sendmsg(MSG_INTERRUPT)
.LBB5_128:
	s_or_b64 exec, exec, s[8:9]
	s_branch .LBB5_132
.LBB5_129:                              ;   in Loop: Header=BB5_132 Depth=1
	s_or_b64 exec, exec, s[8:9]
	v_readfirstlane_b32 s8, v0
	s_cmp_eq_u32 s8, 0
	s_cbranch_scc1 .LBB5_131
; %bb.130:                              ;   in Loop: Header=BB5_132 Depth=1
	s_sleep 1
	s_cbranch_execnz .LBB5_132
	s_branch .LBB5_134
.LBB5_131:
	s_branch .LBB5_134
.LBB5_132:                              ; =>This Inner Loop Header: Depth=1
	v_mov_b32_e32 v0, 1
	s_and_saveexec_b64 s[8:9], s[4:5]
	s_cbranch_execz .LBB5_129
; %bb.133:                              ;   in Loop: Header=BB5_132 Depth=1
	global_load_dword v0, v[8:9], off offset:20 glc
	s_waitcnt vmcnt(0)
	buffer_wbinvl1_vol
	v_and_b32_e32 v0, 1, v0
	s_branch .LBB5_129
.LBB5_134:
	s_and_saveexec_b64 s[8:9], s[4:5]
	s_cbranch_execz .LBB5_137
; %bb.135:
	v_mov_b32_e32 v6, 0
	global_load_dwordx2 v[0:1], v6, s[34:35] offset:40
	global_load_dwordx2 v[9:10], v6, s[34:35] offset:24 glc
	global_load_dwordx2 v[2:3], v6, s[34:35]
	s_waitcnt vmcnt(2)
	v_readfirstlane_b32 s10, v0
	v_readfirstlane_b32 s11, v1
	s_add_u32 s12, s10, 1
	s_addc_u32 s13, s11, 0
	s_add_u32 s4, s12, s6
	s_addc_u32 s5, s13, s7
	s_cmp_eq_u64 s[4:5], 0
	s_cselect_b32 s5, s13, s5
	s_cselect_b32 s4, s12, s4
	s_and_b64 s[6:7], s[4:5], s[10:11]
	s_mul_i32 s7, s7, 24
	s_mul_hi_u32 s10, s6, 24
	s_mul_i32 s6, s6, 24
	s_add_i32 s7, s10, s7
	v_mov_b32_e32 v0, s7
	s_waitcnt vmcnt(0)
	v_add_co_u32_e32 v4, vcc, s6, v2
	v_addc_co_u32_e32 v5, vcc, v3, v0, vcc
	v_mov_b32_e32 v7, s4
	global_store_dwordx2 v[4:5], v[9:10], off
	v_mov_b32_e32 v8, s5
	s_waitcnt vmcnt(0)
	global_atomic_cmpswap_x2 v[2:3], v6, v[7:10], s[34:35] offset:24 glc
	s_mov_b64 s[6:7], 0
	s_waitcnt vmcnt(0)
	v_cmp_ne_u64_e32 vcc, v[2:3], v[9:10]
	s_and_b64 exec, exec, vcc
	s_cbranch_execz .LBB5_137
.LBB5_136:                              ; =>This Inner Loop Header: Depth=1
	s_sleep 1
	global_store_dwordx2 v[4:5], v[2:3], off
	v_mov_b32_e32 v0, s4
	v_mov_b32_e32 v1, s5
	s_waitcnt vmcnt(0)
	global_atomic_cmpswap_x2 v[0:1], v6, v[0:3], s[34:35] offset:24 glc
	s_waitcnt vmcnt(0)
	v_cmp_eq_u64_e32 vcc, v[0:1], v[2:3]
	v_mov_b32_e32 v3, v1
	s_or_b64 s[6:7], vcc, s[6:7]
	v_mov_b32_e32 v2, v0
	s_andn2_b64 exec, exec, s[6:7]
	s_cbranch_execnz .LBB5_136
.LBB5_137:
	s_or_b64 exec, exec, s[8:9]
.LBB5_138:
	v_readfirstlane_b32 s4, v45
	s_waitcnt vmcnt(0)
	v_mov_b32_e32 v5, 0
	v_mov_b32_e32 v6, 0
	v_cmp_eq_u32_e64 s[4:5], s4, v45
	s_and_saveexec_b64 s[6:7], s[4:5]
	s_cbranch_execz .LBB5_144
; %bb.139:
	v_mov_b32_e32 v0, 0
	global_load_dwordx2 v[3:4], v0, s[34:35] offset:24 glc
	s_waitcnt vmcnt(0)
	buffer_wbinvl1_vol
	global_load_dwordx2 v[1:2], v0, s[34:35] offset:40
	global_load_dwordx2 v[5:6], v0, s[34:35]
	s_waitcnt vmcnt(1)
	v_and_b32_e32 v1, v1, v3
	v_and_b32_e32 v2, v2, v4
	v_mul_lo_u32 v2, v2, 24
	v_mul_hi_u32 v7, v1, 24
	v_mul_lo_u32 v1, v1, 24
	v_add_u32_e32 v2, v7, v2
	s_waitcnt vmcnt(0)
	v_add_co_u32_e32 v1, vcc, v5, v1
	v_addc_co_u32_e32 v2, vcc, v6, v2, vcc
	global_load_dwordx2 v[1:2], v[1:2], off glc
	s_waitcnt vmcnt(0)
	global_atomic_cmpswap_x2 v[5:6], v0, v[1:4], s[34:35] offset:24 glc
	s_waitcnt vmcnt(0)
	buffer_wbinvl1_vol
	v_cmp_ne_u64_e32 vcc, v[5:6], v[3:4]
	s_and_saveexec_b64 s[8:9], vcc
	s_cbranch_execz .LBB5_143
; %bb.140:
	s_mov_b64 s[10:11], 0
.LBB5_141:                              ; =>This Inner Loop Header: Depth=1
	s_sleep 1
	global_load_dwordx2 v[1:2], v0, s[34:35] offset:40
	global_load_dwordx2 v[7:8], v0, s[34:35]
	v_mov_b32_e32 v3, v5
	v_mov_b32_e32 v4, v6
	s_waitcnt vmcnt(1)
	v_and_b32_e32 v1, v1, v3
	s_waitcnt vmcnt(0)
	v_mad_u64_u32 v[5:6], s[12:13], v1, 24, v[7:8]
	v_and_b32_e32 v2, v2, v4
	v_mov_b32_e32 v1, v6
	v_mad_u64_u32 v[1:2], s[12:13], v2, 24, v[1:2]
	v_mov_b32_e32 v6, v1
	global_load_dwordx2 v[1:2], v[5:6], off glc
	s_waitcnt vmcnt(0)
	global_atomic_cmpswap_x2 v[5:6], v0, v[1:4], s[34:35] offset:24 glc
	s_waitcnt vmcnt(0)
	buffer_wbinvl1_vol
	v_cmp_eq_u64_e32 vcc, v[5:6], v[3:4]
	s_or_b64 s[10:11], vcc, s[10:11]
	s_andn2_b64 exec, exec, s[10:11]
	s_cbranch_execnz .LBB5_141
; %bb.142:
	s_or_b64 exec, exec, s[10:11]
.LBB5_143:
	s_or_b64 exec, exec, s[8:9]
.LBB5_144:
	s_or_b64 exec, exec, s[6:7]
	v_mov_b32_e32 v4, 0
	global_load_dwordx2 v[7:8], v4, s[34:35] offset:40
	global_load_dwordx4 v[0:3], v4, s[34:35]
	v_readfirstlane_b32 s7, v6
	v_readfirstlane_b32 s6, v5
	s_mov_b64 s[8:9], exec
	s_waitcnt vmcnt(1)
	v_readfirstlane_b32 s10, v7
	v_readfirstlane_b32 s11, v8
	s_and_b64 s[10:11], s[10:11], s[6:7]
	s_mul_i32 s12, s11, 24
	s_mul_hi_u32 s13, s10, 24
	s_mul_i32 s14, s10, 24
	s_add_i32 s12, s13, s12
	v_mov_b32_e32 v5, s12
	s_waitcnt vmcnt(0)
	v_add_co_u32_e32 v7, vcc, s14, v0
	v_addc_co_u32_e32 v8, vcc, v1, v5, vcc
	s_and_saveexec_b64 s[12:13], s[4:5]
	s_cbranch_execz .LBB5_146
; %bb.145:
	v_mov_b32_e32 v10, s9
	v_mov_b32_e32 v9, s8
	v_mov_b32_e32 v11, 2
	v_mov_b32_e32 v12, 1
	global_store_dwordx4 v[7:8], v[9:12], off offset:8
.LBB5_146:
	s_or_b64 exec, exec, s[12:13]
	s_lshl_b64 s[8:9], s[10:11], 12
	v_mov_b32_e32 v5, s9
	v_add_co_u32_e32 v2, vcc, s8, v2
	v_addc_co_u32_e32 v11, vcc, v3, v5, vcc
	s_mov_b32 s8, 0
	v_mov_b32_e32 v3, 33
	v_mov_b32_e32 v5, v4
	;; [unrolled: 1-line block ×3, first 2 shown]
	v_readfirstlane_b32 s12, v2
	v_readfirstlane_b32 s13, v11
	v_add_co_u32_e32 v9, vcc, v2, v44
	s_mov_b32 s9, s8
	s_mov_b32 s10, s8
	;; [unrolled: 1-line block ×3, first 2 shown]
	s_nop 0
	global_store_dwordx4 v44, v[3:6], s[12:13]
	v_mov_b32_e32 v2, s8
	v_addc_co_u32_e32 v10, vcc, 0, v11, vcc
	v_mov_b32_e32 v3, s9
	v_mov_b32_e32 v4, s10
	;; [unrolled: 1-line block ×3, first 2 shown]
	global_store_dwordx4 v44, v[2:5], s[12:13] offset:16
	global_store_dwordx4 v44, v[2:5], s[12:13] offset:32
	;; [unrolled: 1-line block ×3, first 2 shown]
	s_and_saveexec_b64 s[8:9], s[4:5]
	s_cbranch_execz .LBB5_154
; %bb.147:
	v_mov_b32_e32 v6, 0
	global_load_dwordx2 v[13:14], v6, s[34:35] offset:32 glc
	global_load_dwordx2 v[2:3], v6, s[34:35] offset:40
	v_mov_b32_e32 v11, s6
	v_mov_b32_e32 v12, s7
	s_waitcnt vmcnt(0)
	v_readfirstlane_b32 s10, v2
	v_readfirstlane_b32 s11, v3
	s_and_b64 s[10:11], s[10:11], s[6:7]
	s_mul_i32 s11, s11, 24
	s_mul_hi_u32 s12, s10, 24
	s_mul_i32 s10, s10, 24
	s_add_i32 s11, s12, s11
	v_mov_b32_e32 v2, s11
	v_add_co_u32_e32 v4, vcc, s10, v0
	v_addc_co_u32_e32 v5, vcc, v1, v2, vcc
	global_store_dwordx2 v[4:5], v[13:14], off
	s_waitcnt vmcnt(0)
	global_atomic_cmpswap_x2 v[2:3], v6, v[11:14], s[34:35] offset:32 glc
	s_waitcnt vmcnt(0)
	v_cmp_ne_u64_e32 vcc, v[2:3], v[13:14]
	s_and_saveexec_b64 s[10:11], vcc
	s_cbranch_execz .LBB5_150
; %bb.148:
	s_mov_b64 s[12:13], 0
.LBB5_149:                              ; =>This Inner Loop Header: Depth=1
	s_sleep 1
	global_store_dwordx2 v[4:5], v[2:3], off
	v_mov_b32_e32 v0, s6
	v_mov_b32_e32 v1, s7
	s_waitcnt vmcnt(0)
	global_atomic_cmpswap_x2 v[0:1], v6, v[0:3], s[34:35] offset:32 glc
	s_waitcnt vmcnt(0)
	v_cmp_eq_u64_e32 vcc, v[0:1], v[2:3]
	v_mov_b32_e32 v3, v1
	s_or_b64 s[12:13], vcc, s[12:13]
	v_mov_b32_e32 v2, v0
	s_andn2_b64 exec, exec, s[12:13]
	s_cbranch_execnz .LBB5_149
.LBB5_150:
	s_or_b64 exec, exec, s[10:11]
	v_mov_b32_e32 v3, 0
	global_load_dwordx2 v[0:1], v3, s[34:35] offset:16
	s_mov_b64 s[10:11], exec
	v_mbcnt_lo_u32_b32 v2, s10, 0
	v_mbcnt_hi_u32_b32 v2, s11, v2
	v_cmp_eq_u32_e32 vcc, 0, v2
	s_and_saveexec_b64 s[12:13], vcc
	s_cbranch_execz .LBB5_152
; %bb.151:
	s_bcnt1_i32_b64 s10, s[10:11]
	v_mov_b32_e32 v2, s10
	s_waitcnt vmcnt(0)
	global_atomic_add_x2 v[0:1], v[2:3], off offset:8
.LBB5_152:
	s_or_b64 exec, exec, s[12:13]
	s_waitcnt vmcnt(0)
	global_load_dwordx2 v[2:3], v[0:1], off offset:16
	s_waitcnt vmcnt(0)
	v_cmp_eq_u64_e32 vcc, 0, v[2:3]
	s_cbranch_vccnz .LBB5_154
; %bb.153:
	global_load_dword v0, v[0:1], off offset:24
	v_mov_b32_e32 v1, 0
	s_waitcnt vmcnt(0)
	v_readfirstlane_b32 s10, v0
	s_and_b32 m0, s10, 0xffffff
	global_store_dwordx2 v[2:3], v[0:1], off
	s_sendmsg sendmsg(MSG_INTERRUPT)
.LBB5_154:
	s_or_b64 exec, exec, s[8:9]
	s_branch .LBB5_158
.LBB5_155:                              ;   in Loop: Header=BB5_158 Depth=1
	s_or_b64 exec, exec, s[8:9]
	v_readfirstlane_b32 s8, v0
	s_cmp_eq_u32 s8, 0
	s_cbranch_scc1 .LBB5_157
; %bb.156:                              ;   in Loop: Header=BB5_158 Depth=1
	s_sleep 1
	s_cbranch_execnz .LBB5_158
	s_branch .LBB5_160
.LBB5_157:
	s_branch .LBB5_160
.LBB5_158:                              ; =>This Inner Loop Header: Depth=1
	v_mov_b32_e32 v0, 1
	s_and_saveexec_b64 s[8:9], s[4:5]
	s_cbranch_execz .LBB5_155
; %bb.159:                              ;   in Loop: Header=BB5_158 Depth=1
	global_load_dword v0, v[7:8], off offset:20 glc
	s_waitcnt vmcnt(0)
	buffer_wbinvl1_vol
	v_and_b32_e32 v0, 1, v0
	s_branch .LBB5_155
.LBB5_160:
	global_load_dwordx2 v[0:1], v[9:10], off
	s_and_saveexec_b64 s[8:9], s[4:5]
	s_cbranch_execz .LBB5_163
; %bb.161:
	v_mov_b32_e32 v8, 0
	global_load_dwordx2 v[2:3], v8, s[34:35] offset:40
	global_load_dwordx2 v[11:12], v8, s[34:35] offset:24 glc
	global_load_dwordx2 v[4:5], v8, s[34:35]
	s_waitcnt vmcnt(2)
	v_readfirstlane_b32 s10, v2
	v_readfirstlane_b32 s11, v3
	s_add_u32 s12, s10, 1
	s_addc_u32 s13, s11, 0
	s_add_u32 s4, s12, s6
	s_addc_u32 s5, s13, s7
	s_cmp_eq_u64 s[4:5], 0
	s_cselect_b32 s5, s13, s5
	s_cselect_b32 s4, s12, s4
	s_and_b64 s[6:7], s[4:5], s[10:11]
	s_mul_i32 s7, s7, 24
	s_mul_hi_u32 s10, s6, 24
	s_mul_i32 s6, s6, 24
	s_add_i32 s7, s10, s7
	v_mov_b32_e32 v2, s7
	s_waitcnt vmcnt(0)
	v_add_co_u32_e32 v6, vcc, s6, v4
	v_addc_co_u32_e32 v7, vcc, v5, v2, vcc
	v_mov_b32_e32 v9, s4
	global_store_dwordx2 v[6:7], v[11:12], off
	v_mov_b32_e32 v10, s5
	s_waitcnt vmcnt(0)
	global_atomic_cmpswap_x2 v[4:5], v8, v[9:12], s[34:35] offset:24 glc
	s_mov_b64 s[6:7], 0
	s_waitcnt vmcnt(0)
	v_cmp_ne_u64_e32 vcc, v[4:5], v[11:12]
	s_and_b64 exec, exec, vcc
	s_cbranch_execz .LBB5_163
.LBB5_162:                              ; =>This Inner Loop Header: Depth=1
	s_sleep 1
	global_store_dwordx2 v[6:7], v[4:5], off
	v_mov_b32_e32 v2, s4
	v_mov_b32_e32 v3, s5
	s_waitcnt vmcnt(0)
	global_atomic_cmpswap_x2 v[2:3], v8, v[2:5], s[34:35] offset:24 glc
	s_waitcnt vmcnt(0)
	v_cmp_eq_u64_e32 vcc, v[2:3], v[4:5]
	v_mov_b32_e32 v5, v3
	s_or_b64 s[6:7], vcc, s[6:7]
	v_mov_b32_e32 v4, v2
	s_andn2_b64 exec, exec, s[6:7]
	s_cbranch_execnz .LBB5_162
.LBB5_163:
	s_or_b64 exec, exec, s[8:9]
	s_getpc_b64 s[6:7]
	s_add_u32 s6, s6, .str.1@rel32@lo+4
	s_addc_u32 s7, s7, .str.1@rel32@hi+12
	s_cmp_lg_u64 s[6:7], 0
	s_cbranch_scc0 .LBB5_249
; %bb.164:
	s_waitcnt vmcnt(0)
	v_and_b32_e32 v6, -3, v0
	v_mov_b32_e32 v7, v1
	s_mov_b64 s[8:9], 29
	v_mov_b32_e32 v26, 0
	v_mov_b32_e32 v4, 2
	;; [unrolled: 1-line block ×3, first 2 shown]
	s_branch .LBB5_166
.LBB5_165:                              ;   in Loop: Header=BB5_166 Depth=1
	s_or_b64 exec, exec, s[14:15]
	s_sub_u32 s8, s8, s10
	s_subb_u32 s9, s9, s11
	s_add_u32 s6, s6, s10
	s_addc_u32 s7, s7, s11
	s_cmp_lg_u64 s[8:9], 0
	s_cbranch_scc0 .LBB5_248
.LBB5_166:                              ; =>This Loop Header: Depth=1
                                        ;     Child Loop BB5_169 Depth 2
                                        ;     Child Loop BB5_177 Depth 2
	;; [unrolled: 1-line block ×11, first 2 shown]
	v_cmp_lt_u64_e64 s[4:5], s[8:9], 56
	v_cmp_gt_u64_e64 s[12:13], s[8:9], 7
	s_and_b64 s[4:5], s[4:5], exec
	s_cselect_b32 s11, s9, 0
	s_cselect_b32 s10, s8, 56
	s_add_u32 s4, s6, 8
	s_addc_u32 s5, s7, 0
	s_and_b64 vcc, exec, s[12:13]
	s_cbranch_vccnz .LBB5_170
; %bb.167:                              ;   in Loop: Header=BB5_166 Depth=1
	s_cmp_eq_u64 s[8:9], 0
	s_cbranch_scc1 .LBB5_171
; %bb.168:                              ;   in Loop: Header=BB5_166 Depth=1
	s_waitcnt vmcnt(0)
	v_mov_b32_e32 v8, 0
	s_lshl_b64 s[4:5], s[10:11], 3
	s_mov_b64 s[12:13], 0
	v_mov_b32_e32 v9, 0
	s_mov_b64 s[14:15], s[6:7]
.LBB5_169:                              ;   Parent Loop BB5_166 Depth=1
                                        ; =>  This Inner Loop Header: Depth=2
	global_load_ubyte v2, v26, s[14:15]
	s_waitcnt vmcnt(0)
	v_and_b32_e32 v25, 0xffff, v2
	v_lshlrev_b64 v[2:3], s12, v[25:26]
	s_add_u32 s12, s12, 8
	s_addc_u32 s13, s13, 0
	s_add_u32 s14, s14, 1
	s_addc_u32 s15, s15, 0
	v_or_b32_e32 v8, v2, v8
	s_cmp_lg_u32 s4, s12
	v_or_b32_e32 v9, v3, v9
	s_cbranch_scc1 .LBB5_169
	s_branch .LBB5_172
.LBB5_170:                              ;   in Loop: Header=BB5_166 Depth=1
	s_mov_b32 s16, 0
	s_branch .LBB5_173
.LBB5_171:                              ;   in Loop: Header=BB5_166 Depth=1
	s_waitcnt vmcnt(0)
	v_mov_b32_e32 v8, 0
	v_mov_b32_e32 v9, 0
.LBB5_172:                              ;   in Loop: Header=BB5_166 Depth=1
	s_mov_b64 s[4:5], s[6:7]
	s_mov_b32 s16, 0
	s_cbranch_execnz .LBB5_174
.LBB5_173:                              ;   in Loop: Header=BB5_166 Depth=1
	global_load_dwordx2 v[8:9], v26, s[6:7]
	s_add_i32 s16, s10, -8
.LBB5_174:                              ;   in Loop: Header=BB5_166 Depth=1
	s_add_u32 s12, s4, 8
	s_addc_u32 s13, s5, 0
	s_cmp_gt_u32 s16, 7
	s_cbranch_scc1 .LBB5_178
; %bb.175:                              ;   in Loop: Header=BB5_166 Depth=1
	s_cmp_eq_u32 s16, 0
	s_cbranch_scc1 .LBB5_179
; %bb.176:                              ;   in Loop: Header=BB5_166 Depth=1
	v_mov_b32_e32 v10, 0
	s_mov_b64 s[12:13], 0
	v_mov_b32_e32 v11, 0
	s_mov_b64 s[14:15], 0
.LBB5_177:                              ;   Parent Loop BB5_166 Depth=1
                                        ; =>  This Inner Loop Header: Depth=2
	s_add_u32 s18, s4, s14
	s_addc_u32 s19, s5, s15
	global_load_ubyte v2, v26, s[18:19]
	s_add_u32 s14, s14, 1
	s_addc_u32 s15, s15, 0
	s_waitcnt vmcnt(0)
	v_and_b32_e32 v25, 0xffff, v2
	v_lshlrev_b64 v[2:3], s12, v[25:26]
	s_add_u32 s12, s12, 8
	s_addc_u32 s13, s13, 0
	v_or_b32_e32 v10, v2, v10
	s_cmp_lg_u32 s16, s14
	v_or_b32_e32 v11, v3, v11
	s_cbranch_scc1 .LBB5_177
	s_branch .LBB5_180
.LBB5_178:                              ;   in Loop: Header=BB5_166 Depth=1
                                        ; implicit-def: $vgpr10_vgpr11
	s_mov_b32 s17, 0
	s_branch .LBB5_181
.LBB5_179:                              ;   in Loop: Header=BB5_166 Depth=1
	v_mov_b32_e32 v10, 0
	v_mov_b32_e32 v11, 0
.LBB5_180:                              ;   in Loop: Header=BB5_166 Depth=1
	s_mov_b64 s[12:13], s[4:5]
	s_mov_b32 s17, 0
	s_cbranch_execnz .LBB5_182
.LBB5_181:                              ;   in Loop: Header=BB5_166 Depth=1
	global_load_dwordx2 v[10:11], v26, s[4:5]
	s_add_i32 s17, s16, -8
.LBB5_182:                              ;   in Loop: Header=BB5_166 Depth=1
	s_add_u32 s4, s12, 8
	s_addc_u32 s5, s13, 0
	s_cmp_gt_u32 s17, 7
	s_cbranch_scc1 .LBB5_186
; %bb.183:                              ;   in Loop: Header=BB5_166 Depth=1
	s_cmp_eq_u32 s17, 0
	s_cbranch_scc1 .LBB5_187
; %bb.184:                              ;   in Loop: Header=BB5_166 Depth=1
	v_mov_b32_e32 v12, 0
	s_mov_b64 s[4:5], 0
	v_mov_b32_e32 v13, 0
	s_mov_b64 s[14:15], 0
.LBB5_185:                              ;   Parent Loop BB5_166 Depth=1
                                        ; =>  This Inner Loop Header: Depth=2
	s_add_u32 s18, s12, s14
	s_addc_u32 s19, s13, s15
	global_load_ubyte v2, v26, s[18:19]
	s_add_u32 s14, s14, 1
	s_addc_u32 s15, s15, 0
	s_waitcnt vmcnt(0)
	v_and_b32_e32 v25, 0xffff, v2
	v_lshlrev_b64 v[2:3], s4, v[25:26]
	s_add_u32 s4, s4, 8
	s_addc_u32 s5, s5, 0
	v_or_b32_e32 v12, v2, v12
	s_cmp_lg_u32 s17, s14
	v_or_b32_e32 v13, v3, v13
	s_cbranch_scc1 .LBB5_185
	s_branch .LBB5_188
.LBB5_186:                              ;   in Loop: Header=BB5_166 Depth=1
	s_mov_b32 s16, 0
	s_branch .LBB5_189
.LBB5_187:                              ;   in Loop: Header=BB5_166 Depth=1
	v_mov_b32_e32 v12, 0
	v_mov_b32_e32 v13, 0
.LBB5_188:                              ;   in Loop: Header=BB5_166 Depth=1
	s_mov_b64 s[4:5], s[12:13]
	s_mov_b32 s16, 0
	s_cbranch_execnz .LBB5_190
.LBB5_189:                              ;   in Loop: Header=BB5_166 Depth=1
	global_load_dwordx2 v[12:13], v26, s[12:13]
	s_add_i32 s16, s17, -8
.LBB5_190:                              ;   in Loop: Header=BB5_166 Depth=1
	s_add_u32 s12, s4, 8
	s_addc_u32 s13, s5, 0
	s_cmp_gt_u32 s16, 7
	s_cbranch_scc1 .LBB5_194
; %bb.191:                              ;   in Loop: Header=BB5_166 Depth=1
	s_cmp_eq_u32 s16, 0
	s_cbranch_scc1 .LBB5_195
; %bb.192:                              ;   in Loop: Header=BB5_166 Depth=1
	v_mov_b32_e32 v14, 0
	s_mov_b64 s[12:13], 0
	v_mov_b32_e32 v15, 0
	s_mov_b64 s[14:15], 0
.LBB5_193:                              ;   Parent Loop BB5_166 Depth=1
                                        ; =>  This Inner Loop Header: Depth=2
	s_add_u32 s18, s4, s14
	s_addc_u32 s19, s5, s15
	global_load_ubyte v2, v26, s[18:19]
	s_add_u32 s14, s14, 1
	s_addc_u32 s15, s15, 0
	s_waitcnt vmcnt(0)
	v_and_b32_e32 v25, 0xffff, v2
	v_lshlrev_b64 v[2:3], s12, v[25:26]
	s_add_u32 s12, s12, 8
	s_addc_u32 s13, s13, 0
	v_or_b32_e32 v14, v2, v14
	s_cmp_lg_u32 s16, s14
	v_or_b32_e32 v15, v3, v15
	s_cbranch_scc1 .LBB5_193
	s_branch .LBB5_196
.LBB5_194:                              ;   in Loop: Header=BB5_166 Depth=1
                                        ; implicit-def: $vgpr14_vgpr15
	s_mov_b32 s17, 0
	s_branch .LBB5_197
.LBB5_195:                              ;   in Loop: Header=BB5_166 Depth=1
	v_mov_b32_e32 v14, 0
	v_mov_b32_e32 v15, 0
.LBB5_196:                              ;   in Loop: Header=BB5_166 Depth=1
	s_mov_b64 s[12:13], s[4:5]
	s_mov_b32 s17, 0
	s_cbranch_execnz .LBB5_198
.LBB5_197:                              ;   in Loop: Header=BB5_166 Depth=1
	global_load_dwordx2 v[14:15], v26, s[4:5]
	s_add_i32 s17, s16, -8
.LBB5_198:                              ;   in Loop: Header=BB5_166 Depth=1
	s_add_u32 s4, s12, 8
	s_addc_u32 s5, s13, 0
	s_cmp_gt_u32 s17, 7
	s_cbranch_scc1 .LBB5_202
; %bb.199:                              ;   in Loop: Header=BB5_166 Depth=1
	s_cmp_eq_u32 s17, 0
	s_cbranch_scc1 .LBB5_203
; %bb.200:                              ;   in Loop: Header=BB5_166 Depth=1
	v_mov_b32_e32 v16, 0
	s_mov_b64 s[4:5], 0
	v_mov_b32_e32 v17, 0
	s_mov_b64 s[14:15], 0
.LBB5_201:                              ;   Parent Loop BB5_166 Depth=1
                                        ; =>  This Inner Loop Header: Depth=2
	s_add_u32 s18, s12, s14
	s_addc_u32 s19, s13, s15
	global_load_ubyte v2, v26, s[18:19]
	s_add_u32 s14, s14, 1
	s_addc_u32 s15, s15, 0
	s_waitcnt vmcnt(0)
	v_and_b32_e32 v25, 0xffff, v2
	v_lshlrev_b64 v[2:3], s4, v[25:26]
	s_add_u32 s4, s4, 8
	s_addc_u32 s5, s5, 0
	v_or_b32_e32 v16, v2, v16
	s_cmp_lg_u32 s17, s14
	v_or_b32_e32 v17, v3, v17
	s_cbranch_scc1 .LBB5_201
	s_branch .LBB5_204
.LBB5_202:                              ;   in Loop: Header=BB5_166 Depth=1
	s_mov_b32 s16, 0
	s_branch .LBB5_205
.LBB5_203:                              ;   in Loop: Header=BB5_166 Depth=1
	v_mov_b32_e32 v16, 0
	v_mov_b32_e32 v17, 0
.LBB5_204:                              ;   in Loop: Header=BB5_166 Depth=1
	s_mov_b64 s[4:5], s[12:13]
	s_mov_b32 s16, 0
	s_cbranch_execnz .LBB5_206
.LBB5_205:                              ;   in Loop: Header=BB5_166 Depth=1
	global_load_dwordx2 v[16:17], v26, s[12:13]
	s_add_i32 s16, s17, -8
.LBB5_206:                              ;   in Loop: Header=BB5_166 Depth=1
	s_add_u32 s12, s4, 8
	s_addc_u32 s13, s5, 0
	s_cmp_gt_u32 s16, 7
	s_cbranch_scc1 .LBB5_210
; %bb.207:                              ;   in Loop: Header=BB5_166 Depth=1
	s_cmp_eq_u32 s16, 0
	s_cbranch_scc1 .LBB5_211
; %bb.208:                              ;   in Loop: Header=BB5_166 Depth=1
	v_mov_b32_e32 v18, 0
	s_mov_b64 s[12:13], 0
	v_mov_b32_e32 v19, 0
	s_mov_b64 s[14:15], 0
.LBB5_209:                              ;   Parent Loop BB5_166 Depth=1
                                        ; =>  This Inner Loop Header: Depth=2
	s_add_u32 s18, s4, s14
	s_addc_u32 s19, s5, s15
	global_load_ubyte v2, v26, s[18:19]
	s_add_u32 s14, s14, 1
	s_addc_u32 s15, s15, 0
	s_waitcnt vmcnt(0)
	v_and_b32_e32 v25, 0xffff, v2
	v_lshlrev_b64 v[2:3], s12, v[25:26]
	s_add_u32 s12, s12, 8
	s_addc_u32 s13, s13, 0
	v_or_b32_e32 v18, v2, v18
	s_cmp_lg_u32 s16, s14
	v_or_b32_e32 v19, v3, v19
	s_cbranch_scc1 .LBB5_209
	s_branch .LBB5_212
.LBB5_210:                              ;   in Loop: Header=BB5_166 Depth=1
                                        ; implicit-def: $vgpr18_vgpr19
	s_mov_b32 s17, 0
	s_branch .LBB5_213
.LBB5_211:                              ;   in Loop: Header=BB5_166 Depth=1
	v_mov_b32_e32 v18, 0
	v_mov_b32_e32 v19, 0
.LBB5_212:                              ;   in Loop: Header=BB5_166 Depth=1
	s_mov_b64 s[12:13], s[4:5]
	s_mov_b32 s17, 0
	s_cbranch_execnz .LBB5_214
.LBB5_213:                              ;   in Loop: Header=BB5_166 Depth=1
	global_load_dwordx2 v[18:19], v26, s[4:5]
	s_add_i32 s17, s16, -8
.LBB5_214:                              ;   in Loop: Header=BB5_166 Depth=1
	s_cmp_gt_u32 s17, 7
	s_cbranch_scc1 .LBB5_218
; %bb.215:                              ;   in Loop: Header=BB5_166 Depth=1
	s_cmp_eq_u32 s17, 0
	s_cbranch_scc1 .LBB5_219
; %bb.216:                              ;   in Loop: Header=BB5_166 Depth=1
	v_mov_b32_e32 v20, 0
	s_mov_b64 s[4:5], 0
	v_mov_b32_e32 v21, 0
	s_mov_b64 s[14:15], s[12:13]
.LBB5_217:                              ;   Parent Loop BB5_166 Depth=1
                                        ; =>  This Inner Loop Header: Depth=2
	global_load_ubyte v2, v26, s[14:15]
	s_add_i32 s17, s17, -1
	s_waitcnt vmcnt(0)
	v_and_b32_e32 v25, 0xffff, v2
	v_lshlrev_b64 v[2:3], s4, v[25:26]
	s_add_u32 s4, s4, 8
	s_addc_u32 s5, s5, 0
	s_add_u32 s14, s14, 1
	s_addc_u32 s15, s15, 0
	v_or_b32_e32 v20, v2, v20
	s_cmp_lg_u32 s17, 0
	v_or_b32_e32 v21, v3, v21
	s_cbranch_scc1 .LBB5_217
	s_branch .LBB5_220
.LBB5_218:                              ;   in Loop: Header=BB5_166 Depth=1
	s_branch .LBB5_221
.LBB5_219:                              ;   in Loop: Header=BB5_166 Depth=1
	v_mov_b32_e32 v20, 0
	v_mov_b32_e32 v21, 0
.LBB5_220:                              ;   in Loop: Header=BB5_166 Depth=1
	s_cbranch_execnz .LBB5_222
.LBB5_221:                              ;   in Loop: Header=BB5_166 Depth=1
	global_load_dwordx2 v[20:21], v26, s[12:13]
.LBB5_222:                              ;   in Loop: Header=BB5_166 Depth=1
	v_readfirstlane_b32 s4, v45
	v_mov_b32_e32 v2, 0
	v_mov_b32_e32 v3, 0
	v_cmp_eq_u32_e64 s[4:5], s4, v45
	s_and_saveexec_b64 s[12:13], s[4:5]
	s_cbranch_execz .LBB5_228
; %bb.223:                              ;   in Loop: Header=BB5_166 Depth=1
	global_load_dwordx2 v[24:25], v26, s[34:35] offset:24 glc
	s_waitcnt vmcnt(0)
	buffer_wbinvl1_vol
	global_load_dwordx2 v[2:3], v26, s[34:35] offset:40
	global_load_dwordx2 v[22:23], v26, s[34:35]
	s_waitcnt vmcnt(1)
	v_and_b32_e32 v2, v2, v24
	v_and_b32_e32 v3, v3, v25
	v_mul_lo_u32 v3, v3, 24
	v_mul_hi_u32 v27, v2, 24
	v_mul_lo_u32 v2, v2, 24
	v_add_u32_e32 v3, v27, v3
	s_waitcnt vmcnt(0)
	v_add_co_u32_e32 v2, vcc, v22, v2
	v_addc_co_u32_e32 v3, vcc, v23, v3, vcc
	global_load_dwordx2 v[22:23], v[2:3], off glc
	s_waitcnt vmcnt(0)
	global_atomic_cmpswap_x2 v[2:3], v26, v[22:25], s[34:35] offset:24 glc
	s_waitcnt vmcnt(0)
	buffer_wbinvl1_vol
	v_cmp_ne_u64_e32 vcc, v[2:3], v[24:25]
	s_and_saveexec_b64 s[14:15], vcc
	s_cbranch_execz .LBB5_227
; %bb.224:                              ;   in Loop: Header=BB5_166 Depth=1
	s_mov_b64 s[16:17], 0
.LBB5_225:                              ;   Parent Loop BB5_166 Depth=1
                                        ; =>  This Inner Loop Header: Depth=2
	s_sleep 1
	global_load_dwordx2 v[22:23], v26, s[34:35] offset:40
	global_load_dwordx2 v[27:28], v26, s[34:35]
	v_mov_b32_e32 v25, v3
	v_mov_b32_e32 v24, v2
	s_waitcnt vmcnt(1)
	v_and_b32_e32 v2, v22, v24
	s_waitcnt vmcnt(0)
	v_mad_u64_u32 v[2:3], s[18:19], v2, 24, v[27:28]
	v_and_b32_e32 v22, v23, v25
	v_mad_u64_u32 v[22:23], s[18:19], v22, 24, v[3:4]
	v_mov_b32_e32 v3, v22
	global_load_dwordx2 v[22:23], v[2:3], off glc
	s_waitcnt vmcnt(0)
	global_atomic_cmpswap_x2 v[2:3], v26, v[22:25], s[34:35] offset:24 glc
	s_waitcnt vmcnt(0)
	buffer_wbinvl1_vol
	v_cmp_eq_u64_e32 vcc, v[2:3], v[24:25]
	s_or_b64 s[16:17], vcc, s[16:17]
	s_andn2_b64 exec, exec, s[16:17]
	s_cbranch_execnz .LBB5_225
; %bb.226:                              ;   in Loop: Header=BB5_166 Depth=1
	s_or_b64 exec, exec, s[16:17]
.LBB5_227:                              ;   in Loop: Header=BB5_166 Depth=1
	s_or_b64 exec, exec, s[14:15]
.LBB5_228:                              ;   in Loop: Header=BB5_166 Depth=1
	s_or_b64 exec, exec, s[12:13]
	global_load_dwordx2 v[27:28], v26, s[34:35] offset:40
	global_load_dwordx4 v[22:25], v26, s[34:35]
	v_readfirstlane_b32 s13, v3
	v_readfirstlane_b32 s12, v2
	s_mov_b64 s[14:15], exec
	s_waitcnt vmcnt(1)
	v_readfirstlane_b32 s16, v27
	v_readfirstlane_b32 s17, v28
	s_and_b64 s[16:17], s[16:17], s[12:13]
	s_mul_i32 s18, s17, 24
	s_mul_hi_u32 s19, s16, 24
	s_mul_i32 s20, s16, 24
	s_add_i32 s18, s19, s18
	v_mov_b32_e32 v2, s18
	s_waitcnt vmcnt(0)
	v_add_co_u32_e32 v27, vcc, s20, v22
	v_addc_co_u32_e32 v28, vcc, v23, v2, vcc
	s_and_saveexec_b64 s[18:19], s[4:5]
	s_cbranch_execz .LBB5_230
; %bb.229:                              ;   in Loop: Header=BB5_166 Depth=1
	v_mov_b32_e32 v2, s14
	v_mov_b32_e32 v3, s15
	global_store_dwordx4 v[27:28], v[2:5], off offset:8
.LBB5_230:                              ;   in Loop: Header=BB5_166 Depth=1
	s_or_b64 exec, exec, s[18:19]
	s_lshl_b64 s[14:15], s[16:17], 12
	v_cmp_gt_u64_e64 s[16:17], s[8:9], 56
	v_mov_b32_e32 v2, s15
	v_add_co_u32_e32 v24, vcc, s14, v24
	s_and_b64 s[14:15], s[16:17], exec
	s_cselect_b32 s14, 0, 2
	s_lshl_b32 s15, s10, 2
	v_addc_co_u32_e32 v29, vcc, v25, v2, vcc
	s_add_i32 s15, s15, 28
	v_and_b32_e32 v2, 0xffffff1f, v6
	s_and_b32 s15, s15, 0x1e0
	v_or_b32_e32 v2, s14, v2
	v_or_b32_e32 v6, s15, v2
	v_readfirstlane_b32 s14, v24
	v_readfirstlane_b32 s15, v29
	s_nop 4
	global_store_dwordx4 v44, v[6:9], s[14:15]
	global_store_dwordx4 v44, v[10:13], s[14:15] offset:16
	global_store_dwordx4 v44, v[14:17], s[14:15] offset:32
	;; [unrolled: 1-line block ×3, first 2 shown]
	s_and_saveexec_b64 s[14:15], s[4:5]
	s_cbranch_execz .LBB5_238
; %bb.231:                              ;   in Loop: Header=BB5_166 Depth=1
	global_load_dwordx2 v[10:11], v26, s[34:35] offset:32 glc
	global_load_dwordx2 v[2:3], v26, s[34:35] offset:40
	v_mov_b32_e32 v8, s12
	v_mov_b32_e32 v9, s13
	s_waitcnt vmcnt(0)
	v_readfirstlane_b32 s16, v2
	v_readfirstlane_b32 s17, v3
	s_and_b64 s[16:17], s[16:17], s[12:13]
	s_mul_i32 s17, s17, 24
	s_mul_hi_u32 s18, s16, 24
	s_mul_i32 s16, s16, 24
	s_add_i32 s17, s18, s17
	v_mov_b32_e32 v3, s17
	v_add_co_u32_e32 v2, vcc, s16, v22
	v_addc_co_u32_e32 v3, vcc, v23, v3, vcc
	global_store_dwordx2 v[2:3], v[10:11], off
	s_waitcnt vmcnt(0)
	global_atomic_cmpswap_x2 v[8:9], v26, v[8:11], s[34:35] offset:32 glc
	s_waitcnt vmcnt(0)
	v_cmp_ne_u64_e32 vcc, v[8:9], v[10:11]
	s_and_saveexec_b64 s[16:17], vcc
	s_cbranch_execz .LBB5_234
; %bb.232:                              ;   in Loop: Header=BB5_166 Depth=1
	s_mov_b64 s[18:19], 0
.LBB5_233:                              ;   Parent Loop BB5_166 Depth=1
                                        ; =>  This Inner Loop Header: Depth=2
	s_sleep 1
	global_store_dwordx2 v[2:3], v[8:9], off
	v_mov_b32_e32 v6, s12
	v_mov_b32_e32 v7, s13
	s_waitcnt vmcnt(0)
	global_atomic_cmpswap_x2 v[6:7], v26, v[6:9], s[34:35] offset:32 glc
	s_waitcnt vmcnt(0)
	v_cmp_eq_u64_e32 vcc, v[6:7], v[8:9]
	v_mov_b32_e32 v9, v7
	s_or_b64 s[18:19], vcc, s[18:19]
	v_mov_b32_e32 v8, v6
	s_andn2_b64 exec, exec, s[18:19]
	s_cbranch_execnz .LBB5_233
.LBB5_234:                              ;   in Loop: Header=BB5_166 Depth=1
	s_or_b64 exec, exec, s[16:17]
	global_load_dwordx2 v[2:3], v26, s[34:35] offset:16
	s_mov_b64 s[18:19], exec
	v_mbcnt_lo_u32_b32 v6, s18, 0
	v_mbcnt_hi_u32_b32 v6, s19, v6
	v_cmp_eq_u32_e32 vcc, 0, v6
	s_and_saveexec_b64 s[16:17], vcc
	s_cbranch_execz .LBB5_236
; %bb.235:                              ;   in Loop: Header=BB5_166 Depth=1
	s_bcnt1_i32_b64 s18, s[18:19]
	v_mov_b32_e32 v25, s18
	s_waitcnt vmcnt(0)
	global_atomic_add_x2 v[2:3], v[25:26], off offset:8
.LBB5_236:                              ;   in Loop: Header=BB5_166 Depth=1
	s_or_b64 exec, exec, s[16:17]
	s_waitcnt vmcnt(0)
	global_load_dwordx2 v[6:7], v[2:3], off offset:16
	s_waitcnt vmcnt(0)
	v_cmp_eq_u64_e32 vcc, 0, v[6:7]
	s_cbranch_vccnz .LBB5_238
; %bb.237:                              ;   in Loop: Header=BB5_166 Depth=1
	global_load_dword v25, v[2:3], off offset:24
	s_waitcnt vmcnt(0)
	v_readfirstlane_b32 s16, v25
	s_and_b32 m0, s16, 0xffffff
	global_store_dwordx2 v[6:7], v[25:26], off
	s_sendmsg sendmsg(MSG_INTERRUPT)
.LBB5_238:                              ;   in Loop: Header=BB5_166 Depth=1
	s_or_b64 exec, exec, s[14:15]
	v_add_co_u32_e32 v2, vcc, v24, v44
	v_addc_co_u32_e32 v3, vcc, 0, v29, vcc
	s_branch .LBB5_242
.LBB5_239:                              ;   in Loop: Header=BB5_242 Depth=2
	s_or_b64 exec, exec, s[14:15]
	v_readfirstlane_b32 s14, v6
	s_cmp_eq_u32 s14, 0
	s_cbranch_scc1 .LBB5_241
; %bb.240:                              ;   in Loop: Header=BB5_242 Depth=2
	s_sleep 1
	s_cbranch_execnz .LBB5_242
	s_branch .LBB5_244
.LBB5_241:                              ;   in Loop: Header=BB5_166 Depth=1
	s_branch .LBB5_244
.LBB5_242:                              ;   Parent Loop BB5_166 Depth=1
                                        ; =>  This Inner Loop Header: Depth=2
	v_mov_b32_e32 v6, 1
	s_and_saveexec_b64 s[14:15], s[4:5]
	s_cbranch_execz .LBB5_239
; %bb.243:                              ;   in Loop: Header=BB5_242 Depth=2
	global_load_dword v6, v[27:28], off offset:20 glc
	s_waitcnt vmcnt(0)
	buffer_wbinvl1_vol
	v_and_b32_e32 v6, 1, v6
	s_branch .LBB5_239
.LBB5_244:                              ;   in Loop: Header=BB5_166 Depth=1
	global_load_dwordx4 v[6:9], v[2:3], off
	s_and_saveexec_b64 s[14:15], s[4:5]
	s_cbranch_execz .LBB5_165
; %bb.245:                              ;   in Loop: Header=BB5_166 Depth=1
	global_load_dwordx2 v[2:3], v26, s[34:35] offset:40
	global_load_dwordx2 v[12:13], v26, s[34:35] offset:24 glc
	global_load_dwordx2 v[8:9], v26, s[34:35]
	s_waitcnt vmcnt(2)
	v_readfirstlane_b32 s16, v2
	v_readfirstlane_b32 s17, v3
	s_add_u32 s18, s16, 1
	s_addc_u32 s19, s17, 0
	s_add_u32 s4, s18, s12
	s_addc_u32 s5, s19, s13
	s_cmp_eq_u64 s[4:5], 0
	s_cselect_b32 s5, s19, s5
	s_cselect_b32 s4, s18, s4
	s_and_b64 s[12:13], s[4:5], s[16:17]
	s_mul_i32 s13, s13, 24
	s_mul_hi_u32 s16, s12, 24
	s_mul_i32 s12, s12, 24
	s_add_i32 s13, s16, s13
	v_mov_b32_e32 v3, s13
	s_waitcnt vmcnt(0)
	v_add_co_u32_e32 v2, vcc, s12, v8
	v_addc_co_u32_e32 v3, vcc, v9, v3, vcc
	v_mov_b32_e32 v10, s4
	global_store_dwordx2 v[2:3], v[12:13], off
	v_mov_b32_e32 v11, s5
	s_waitcnt vmcnt(0)
	global_atomic_cmpswap_x2 v[10:11], v26, v[10:13], s[34:35] offset:24 glc
	s_waitcnt vmcnt(0)
	v_cmp_ne_u64_e32 vcc, v[10:11], v[12:13]
	s_and_b64 exec, exec, vcc
	s_cbranch_execz .LBB5_165
; %bb.246:                              ;   in Loop: Header=BB5_166 Depth=1
	s_mov_b64 s[12:13], 0
.LBB5_247:                              ;   Parent Loop BB5_166 Depth=1
                                        ; =>  This Inner Loop Header: Depth=2
	s_sleep 1
	global_store_dwordx2 v[2:3], v[10:11], off
	v_mov_b32_e32 v8, s4
	v_mov_b32_e32 v9, s5
	s_waitcnt vmcnt(0)
	global_atomic_cmpswap_x2 v[8:9], v26, v[8:11], s[34:35] offset:24 glc
	s_waitcnt vmcnt(0)
	v_cmp_eq_u64_e32 vcc, v[8:9], v[10:11]
	v_mov_b32_e32 v11, v9
	s_or_b64 s[12:13], vcc, s[12:13]
	v_mov_b32_e32 v10, v8
	s_andn2_b64 exec, exec, s[12:13]
	s_cbranch_execnz .LBB5_247
	s_branch .LBB5_165
.LBB5_248:
	s_branch .LBB5_276
.LBB5_249:
	s_cbranch_execz .LBB5_276
; %bb.250:
	v_readfirstlane_b32 s4, v45
	s_waitcnt vmcnt(0)
	v_mov_b32_e32 v8, 0
	v_mov_b32_e32 v9, 0
	v_cmp_eq_u32_e64 s[4:5], s4, v45
	s_and_saveexec_b64 s[6:7], s[4:5]
	s_cbranch_execz .LBB5_256
; %bb.251:
	v_mov_b32_e32 v2, 0
	global_load_dwordx2 v[5:6], v2, s[34:35] offset:24 glc
	s_waitcnt vmcnt(0)
	buffer_wbinvl1_vol
	global_load_dwordx2 v[3:4], v2, s[34:35] offset:40
	global_load_dwordx2 v[7:8], v2, s[34:35]
	s_waitcnt vmcnt(1)
	v_and_b32_e32 v3, v3, v5
	v_and_b32_e32 v4, v4, v6
	v_mul_lo_u32 v4, v4, 24
	v_mul_hi_u32 v9, v3, 24
	v_mul_lo_u32 v3, v3, 24
	v_add_u32_e32 v4, v9, v4
	s_waitcnt vmcnt(0)
	v_add_co_u32_e32 v3, vcc, v7, v3
	v_addc_co_u32_e32 v4, vcc, v8, v4, vcc
	global_load_dwordx2 v[3:4], v[3:4], off glc
	s_waitcnt vmcnt(0)
	global_atomic_cmpswap_x2 v[8:9], v2, v[3:6], s[34:35] offset:24 glc
	s_waitcnt vmcnt(0)
	buffer_wbinvl1_vol
	v_cmp_ne_u64_e32 vcc, v[8:9], v[5:6]
	s_and_saveexec_b64 s[8:9], vcc
	s_cbranch_execz .LBB5_255
; %bb.252:
	s_mov_b64 s[10:11], 0
.LBB5_253:                              ; =>This Inner Loop Header: Depth=1
	s_sleep 1
	global_load_dwordx2 v[3:4], v2, s[34:35] offset:40
	global_load_dwordx2 v[10:11], v2, s[34:35]
	v_mov_b32_e32 v5, v8
	v_mov_b32_e32 v6, v9
	s_waitcnt vmcnt(1)
	v_and_b32_e32 v3, v3, v5
	s_waitcnt vmcnt(0)
	v_mad_u64_u32 v[7:8], s[12:13], v3, 24, v[10:11]
	v_and_b32_e32 v4, v4, v6
	v_mov_b32_e32 v3, v8
	v_mad_u64_u32 v[3:4], s[12:13], v4, 24, v[3:4]
	v_mov_b32_e32 v8, v3
	global_load_dwordx2 v[3:4], v[7:8], off glc
	s_waitcnt vmcnt(0)
	global_atomic_cmpswap_x2 v[8:9], v2, v[3:6], s[34:35] offset:24 glc
	s_waitcnt vmcnt(0)
	buffer_wbinvl1_vol
	v_cmp_eq_u64_e32 vcc, v[8:9], v[5:6]
	s_or_b64 s[10:11], vcc, s[10:11]
	s_andn2_b64 exec, exec, s[10:11]
	s_cbranch_execnz .LBB5_253
; %bb.254:
	s_or_b64 exec, exec, s[10:11]
.LBB5_255:
	s_or_b64 exec, exec, s[8:9]
.LBB5_256:
	s_or_b64 exec, exec, s[6:7]
	v_mov_b32_e32 v2, 0
	global_load_dwordx2 v[10:11], v2, s[34:35] offset:40
	global_load_dwordx4 v[4:7], v2, s[34:35]
	v_readfirstlane_b32 s7, v9
	v_readfirstlane_b32 s6, v8
	s_mov_b64 s[8:9], exec
	s_waitcnt vmcnt(1)
	v_readfirstlane_b32 s10, v10
	v_readfirstlane_b32 s11, v11
	s_and_b64 s[10:11], s[10:11], s[6:7]
	s_mul_i32 s12, s11, 24
	s_mul_hi_u32 s13, s10, 24
	s_mul_i32 s14, s10, 24
	s_add_i32 s12, s13, s12
	v_mov_b32_e32 v3, s12
	s_waitcnt vmcnt(0)
	v_add_co_u32_e32 v8, vcc, s14, v4
	v_addc_co_u32_e32 v9, vcc, v5, v3, vcc
	s_and_saveexec_b64 s[12:13], s[4:5]
	s_cbranch_execz .LBB5_258
; %bb.257:
	v_mov_b32_e32 v11, s9
	v_mov_b32_e32 v10, s8
	;; [unrolled: 1-line block ×4, first 2 shown]
	global_store_dwordx4 v[8:9], v[10:13], off offset:8
.LBB5_258:
	s_or_b64 exec, exec, s[12:13]
	s_lshl_b64 s[8:9], s[10:11], 12
	v_mov_b32_e32 v3, s9
	v_add_co_u32_e32 v6, vcc, s8, v6
	v_addc_co_u32_e32 v7, vcc, v7, v3, vcc
	s_movk_i32 s8, 0xff1d
	v_and_or_b32 v0, v0, s8, 34
	s_mov_b32 s8, 0
	v_mov_b32_e32 v3, v2
	v_readfirstlane_b32 s12, v6
	v_readfirstlane_b32 s13, v7
	s_mov_b32 s9, s8
	s_mov_b32 s10, s8
	s_mov_b32 s11, s8
	s_nop 1
	global_store_dwordx4 v44, v[0:3], s[12:13]
	s_nop 0
	v_mov_b32_e32 v0, s8
	v_mov_b32_e32 v1, s9
	;; [unrolled: 1-line block ×4, first 2 shown]
	global_store_dwordx4 v44, v[0:3], s[12:13] offset:16
	global_store_dwordx4 v44, v[0:3], s[12:13] offset:32
	;; [unrolled: 1-line block ×3, first 2 shown]
	s_and_saveexec_b64 s[8:9], s[4:5]
	s_cbranch_execz .LBB5_266
; %bb.259:
	v_mov_b32_e32 v6, 0
	global_load_dwordx2 v[12:13], v6, s[34:35] offset:32 glc
	global_load_dwordx2 v[0:1], v6, s[34:35] offset:40
	v_mov_b32_e32 v10, s6
	v_mov_b32_e32 v11, s7
	s_waitcnt vmcnt(0)
	v_readfirstlane_b32 s10, v0
	v_readfirstlane_b32 s11, v1
	s_and_b64 s[10:11], s[10:11], s[6:7]
	s_mul_i32 s11, s11, 24
	s_mul_hi_u32 s12, s10, 24
	s_mul_i32 s10, s10, 24
	s_add_i32 s11, s12, s11
	v_mov_b32_e32 v0, s11
	v_add_co_u32_e32 v4, vcc, s10, v4
	v_addc_co_u32_e32 v5, vcc, v5, v0, vcc
	global_store_dwordx2 v[4:5], v[12:13], off
	s_waitcnt vmcnt(0)
	global_atomic_cmpswap_x2 v[2:3], v6, v[10:13], s[34:35] offset:32 glc
	s_waitcnt vmcnt(0)
	v_cmp_ne_u64_e32 vcc, v[2:3], v[12:13]
	s_and_saveexec_b64 s[10:11], vcc
	s_cbranch_execz .LBB5_262
; %bb.260:
	s_mov_b64 s[12:13], 0
.LBB5_261:                              ; =>This Inner Loop Header: Depth=1
	s_sleep 1
	global_store_dwordx2 v[4:5], v[2:3], off
	v_mov_b32_e32 v0, s6
	v_mov_b32_e32 v1, s7
	s_waitcnt vmcnt(0)
	global_atomic_cmpswap_x2 v[0:1], v6, v[0:3], s[34:35] offset:32 glc
	s_waitcnt vmcnt(0)
	v_cmp_eq_u64_e32 vcc, v[0:1], v[2:3]
	v_mov_b32_e32 v3, v1
	s_or_b64 s[12:13], vcc, s[12:13]
	v_mov_b32_e32 v2, v0
	s_andn2_b64 exec, exec, s[12:13]
	s_cbranch_execnz .LBB5_261
.LBB5_262:
	s_or_b64 exec, exec, s[10:11]
	v_mov_b32_e32 v3, 0
	global_load_dwordx2 v[0:1], v3, s[34:35] offset:16
	s_mov_b64 s[10:11], exec
	v_mbcnt_lo_u32_b32 v2, s10, 0
	v_mbcnt_hi_u32_b32 v2, s11, v2
	v_cmp_eq_u32_e32 vcc, 0, v2
	s_and_saveexec_b64 s[12:13], vcc
	s_cbranch_execz .LBB5_264
; %bb.263:
	s_bcnt1_i32_b64 s10, s[10:11]
	v_mov_b32_e32 v2, s10
	s_waitcnt vmcnt(0)
	global_atomic_add_x2 v[0:1], v[2:3], off offset:8
.LBB5_264:
	s_or_b64 exec, exec, s[12:13]
	s_waitcnt vmcnt(0)
	global_load_dwordx2 v[2:3], v[0:1], off offset:16
	s_waitcnt vmcnt(0)
	v_cmp_eq_u64_e32 vcc, 0, v[2:3]
	s_cbranch_vccnz .LBB5_266
; %bb.265:
	global_load_dword v0, v[0:1], off offset:24
	v_mov_b32_e32 v1, 0
	s_waitcnt vmcnt(0)
	v_readfirstlane_b32 s10, v0
	s_and_b32 m0, s10, 0xffffff
	global_store_dwordx2 v[2:3], v[0:1], off
	s_sendmsg sendmsg(MSG_INTERRUPT)
.LBB5_266:
	s_or_b64 exec, exec, s[8:9]
	s_branch .LBB5_270
.LBB5_267:                              ;   in Loop: Header=BB5_270 Depth=1
	s_or_b64 exec, exec, s[8:9]
	v_readfirstlane_b32 s8, v0
	s_cmp_eq_u32 s8, 0
	s_cbranch_scc1 .LBB5_269
; %bb.268:                              ;   in Loop: Header=BB5_270 Depth=1
	s_sleep 1
	s_cbranch_execnz .LBB5_270
	s_branch .LBB5_272
.LBB5_269:
	s_branch .LBB5_272
.LBB5_270:                              ; =>This Inner Loop Header: Depth=1
	v_mov_b32_e32 v0, 1
	s_and_saveexec_b64 s[8:9], s[4:5]
	s_cbranch_execz .LBB5_267
; %bb.271:                              ;   in Loop: Header=BB5_270 Depth=1
	global_load_dword v0, v[8:9], off offset:20 glc
	s_waitcnt vmcnt(0)
	buffer_wbinvl1_vol
	v_and_b32_e32 v0, 1, v0
	s_branch .LBB5_267
.LBB5_272:
	s_and_saveexec_b64 s[8:9], s[4:5]
	s_cbranch_execz .LBB5_275
; %bb.273:
	v_mov_b32_e32 v6, 0
	global_load_dwordx2 v[0:1], v6, s[34:35] offset:40
	global_load_dwordx2 v[9:10], v6, s[34:35] offset:24 glc
	global_load_dwordx2 v[2:3], v6, s[34:35]
	s_waitcnt vmcnt(2)
	v_readfirstlane_b32 s10, v0
	v_readfirstlane_b32 s11, v1
	s_add_u32 s12, s10, 1
	s_addc_u32 s13, s11, 0
	s_add_u32 s4, s12, s6
	s_addc_u32 s5, s13, s7
	s_cmp_eq_u64 s[4:5], 0
	s_cselect_b32 s5, s13, s5
	s_cselect_b32 s4, s12, s4
	s_and_b64 s[6:7], s[4:5], s[10:11]
	s_mul_i32 s7, s7, 24
	s_mul_hi_u32 s10, s6, 24
	s_mul_i32 s6, s6, 24
	s_add_i32 s7, s10, s7
	v_mov_b32_e32 v0, s7
	s_waitcnt vmcnt(0)
	v_add_co_u32_e32 v4, vcc, s6, v2
	v_addc_co_u32_e32 v5, vcc, v3, v0, vcc
	v_mov_b32_e32 v7, s4
	global_store_dwordx2 v[4:5], v[9:10], off
	v_mov_b32_e32 v8, s5
	s_waitcnt vmcnt(0)
	global_atomic_cmpswap_x2 v[2:3], v6, v[7:10], s[34:35] offset:24 glc
	s_mov_b64 s[6:7], 0
	s_waitcnt vmcnt(0)
	v_cmp_ne_u64_e32 vcc, v[2:3], v[9:10]
	s_and_b64 exec, exec, vcc
	s_cbranch_execz .LBB5_275
.LBB5_274:                              ; =>This Inner Loop Header: Depth=1
	s_sleep 1
	global_store_dwordx2 v[4:5], v[2:3], off
	v_mov_b32_e32 v0, s4
	v_mov_b32_e32 v1, s5
	s_waitcnt vmcnt(0)
	global_atomic_cmpswap_x2 v[0:1], v6, v[0:3], s[34:35] offset:24 glc
	s_waitcnt vmcnt(0)
	v_cmp_eq_u64_e32 vcc, v[0:1], v[2:3]
	v_mov_b32_e32 v3, v1
	s_or_b64 s[6:7], vcc, s[6:7]
	v_mov_b32_e32 v2, v0
	s_andn2_b64 exec, exec, s[6:7]
	s_cbranch_execnz .LBB5_274
.LBB5_275:
	s_or_b64 exec, exec, s[8:9]
.LBB5_276:
	s_load_dwordx16 s[36:51], s[26:27], 0x0
	v_mov_b32_e32 v2, 0
	s_waitcnt lgkmcnt(0)
	global_load_dword v38, v2, s[36:37]
	s_waitcnt vmcnt(0)
	v_cmp_gt_i32_e32 vcc, 1, v38
	s_cbranch_vccnz .LBB5_1605
; %bb.277:
	s_getpc_b64 s[4:5]
	s_add_u32 s4, s4, .str.2@rel32@lo+4
	s_addc_u32 s5, s5, .str.2@rel32@hi+12
	s_cmp_lg_u64 s[4:5], 0
	s_cselect_b64 s[6:7], -1, 0
	s_getpc_b64 s[4:5]
	s_add_u32 s4, s4, .str.3@rel32@lo+4
	s_addc_u32 s5, s5, .str.3@rel32@hi+12
	s_cmp_lg_u64 s[4:5], 0
	s_cselect_b64 s[12:13], -1, 0
	;; [unrolled: 5-line block ×4, first 2 shown]
	s_getpc_b64 s[4:5]
	s_add_u32 s4, s4, .str.8@rel32@lo+4
	s_addc_u32 s5, s5, .str.8@rel32@hi+12
	s_mov_b32 s19, 0
	s_cmp_lg_u64 s[4:5], 0
	s_cselect_b64 s[20:21], -1, 0
	s_mov_b32 s8, s19
	s_mov_b32 s9, s19
	;; [unrolled: 1-line block ×4, first 2 shown]
	s_movk_i32 s33, 0xff1f
	s_movk_i32 s60, 0xff1d
	v_mov_b32_e32 v5, 2
	v_mov_b32_e32 v6, 1
	v_mov_b32_e32 v0, 33
	s_mov_b32 s18, s19
	s_branch .LBB5_280
.LBB5_278:                              ;   in Loop: Header=BB5_280 Depth=1
	s_or_b64 exec, exec, s[24:25]
.LBB5_279:                              ;   in Loop: Header=BB5_280 Depth=1
	global_load_dword v38, v2, s[36:37]
	s_add_i32 s18, s18, 1
	s_waitcnt vmcnt(0)
	v_cmp_ge_i32_e32 vcc, s18, v38
	s_cbranch_vccnz .LBB5_1605
.LBB5_280:                              ; =>This Loop Header: Depth=1
                                        ;     Child Loop BB5_283 Depth 2
                                        ;     Child Loop BB5_291 Depth 2
	;; [unrolled: 1-line block ×9, first 2 shown]
                                        ;       Child Loop BB5_312 Depth 3
                                        ;       Child Loop BB5_320 Depth 3
	;; [unrolled: 1-line block ×11, first 2 shown]
                                        ;     Child Loop BB5_423 Depth 2
                                        ;     Child Loop BB5_431 Depth 2
	;; [unrolled: 1-line block ×13, first 2 shown]
                                        ;       Child Loop BB5_765 Depth 3
                                        ;       Child Loop BB5_773 Depth 3
	;; [unrolled: 1-line block ×11, first 2 shown]
                                        ;     Child Loop BB5_450 Depth 2
                                        ;     Child Loop BB5_458 Depth 2
	;; [unrolled: 1-line block ×9, first 2 shown]
                                        ;       Child Loop BB5_479 Depth 3
                                        ;       Child Loop BB5_487 Depth 3
	;; [unrolled: 1-line block ×11, first 2 shown]
                                        ;     Child Loop BB5_590 Depth 2
                                        ;     Child Loop BB5_682 Depth 2
	;; [unrolled: 1-line block ×6, first 2 shown]
                                        ;       Child Loop BB5_598 Depth 3
                                        ;       Child Loop BB5_606 Depth 3
	;; [unrolled: 1-line block ×11, first 2 shown]
                                        ;     Child Loop BB5_709 Depth 2
                                        ;     Child Loop BB5_717 Depth 2
	;; [unrolled: 1-line block ×13, first 2 shown]
                                        ;       Child Loop BB5_1192 Depth 3
                                        ;       Child Loop BB5_1200 Depth 3
	;; [unrolled: 1-line block ×11, first 2 shown]
                                        ;     Child Loop BB5_877 Depth 2
                                        ;     Child Loop BB5_885 Depth 2
	;; [unrolled: 1-line block ×9, first 2 shown]
                                        ;       Child Loop BB5_906 Depth 3
                                        ;       Child Loop BB5_914 Depth 3
	;; [unrolled: 1-line block ×11, first 2 shown]
                                        ;     Child Loop BB5_1017 Depth 2
                                        ;     Child Loop BB5_1109 Depth 2
	;; [unrolled: 1-line block ×6, first 2 shown]
                                        ;       Child Loop BB5_1025 Depth 3
                                        ;       Child Loop BB5_1033 Depth 3
	;; [unrolled: 1-line block ×11, first 2 shown]
                                        ;     Child Loop BB5_1136 Depth 2
                                        ;     Child Loop BB5_1144 Depth 2
	;; [unrolled: 1-line block ×13, first 2 shown]
                                        ;       Child Loop BB5_1332 Depth 3
                                        ;       Child Loop BB5_1340 Depth 3
	;; [unrolled: 1-line block ×11, first 2 shown]
                                        ;     Child Loop BB5_1443 Depth 2
                                        ;     Child Loop BB5_1451 Depth 2
	;; [unrolled: 1-line block ×13, first 2 shown]
                                        ;       Child Loop BB5_1498 Depth 3
                                        ;       Child Loop BB5_1506 Depth 3
	;; [unrolled: 1-line block ×11, first 2 shown]
	v_readfirstlane_b32 s4, v45
	v_mov_b32_e32 v3, 0
	v_mov_b32_e32 v4, 0
	v_cmp_eq_u32_e64 s[4:5], s4, v45
	s_and_saveexec_b64 s[22:23], s[4:5]
	s_cbranch_execz .LBB5_286
; %bb.281:                              ;   in Loop: Header=BB5_280 Depth=1
	global_load_dwordx2 v[9:10], v2, s[34:35] offset:24 glc
	s_waitcnt vmcnt(0)
	buffer_wbinvl1_vol
	global_load_dwordx2 v[3:4], v2, s[34:35] offset:40
	global_load_dwordx2 v[7:8], v2, s[34:35]
	s_waitcnt vmcnt(1)
	v_and_b32_e32 v1, v3, v9
	v_and_b32_e32 v3, v4, v10
	v_mul_lo_u32 v3, v3, 24
	v_mul_hi_u32 v4, v1, 24
	v_mul_lo_u32 v1, v1, 24
	v_add_u32_e32 v4, v4, v3
	s_waitcnt vmcnt(0)
	v_add_co_u32_e32 v3, vcc, v7, v1
	v_addc_co_u32_e32 v4, vcc, v8, v4, vcc
	global_load_dwordx2 v[7:8], v[3:4], off glc
	s_waitcnt vmcnt(0)
	global_atomic_cmpswap_x2 v[3:4], v2, v[7:10], s[34:35] offset:24 glc
	s_waitcnt vmcnt(0)
	buffer_wbinvl1_vol
	v_cmp_ne_u64_e32 vcc, v[3:4], v[9:10]
	s_and_saveexec_b64 s[24:25], vcc
	s_cbranch_execz .LBB5_285
; %bb.282:                              ;   in Loop: Header=BB5_280 Depth=1
	s_mov_b64 s[28:29], 0
.LBB5_283:                              ;   Parent Loop BB5_280 Depth=1
                                        ; =>  This Inner Loop Header: Depth=2
	s_sleep 1
	global_load_dwordx2 v[7:8], v2, s[34:35] offset:40
	global_load_dwordx2 v[11:12], v2, s[34:35]
	v_mov_b32_e32 v10, v4
	v_mov_b32_e32 v9, v3
	s_waitcnt vmcnt(1)
	v_and_b32_e32 v1, v7, v9
	s_waitcnt vmcnt(0)
	v_mad_u64_u32 v[3:4], s[30:31], v1, 24, v[11:12]
	v_and_b32_e32 v7, v8, v10
	v_mov_b32_e32 v1, v4
	v_mad_u64_u32 v[7:8], s[30:31], v7, 24, v[1:2]
	v_mov_b32_e32 v4, v7
	global_load_dwordx2 v[7:8], v[3:4], off glc
	s_waitcnt vmcnt(0)
	global_atomic_cmpswap_x2 v[3:4], v2, v[7:10], s[34:35] offset:24 glc
	s_waitcnt vmcnt(0)
	buffer_wbinvl1_vol
	v_cmp_eq_u64_e32 vcc, v[3:4], v[9:10]
	s_or_b64 s[28:29], vcc, s[28:29]
	s_andn2_b64 exec, exec, s[28:29]
	s_cbranch_execnz .LBB5_283
; %bb.284:                              ;   in Loop: Header=BB5_280 Depth=1
	s_or_b64 exec, exec, s[28:29]
.LBB5_285:                              ;   in Loop: Header=BB5_280 Depth=1
	s_or_b64 exec, exec, s[24:25]
.LBB5_286:                              ;   in Loop: Header=BB5_280 Depth=1
	s_or_b64 exec, exec, s[22:23]
	global_load_dwordx2 v[11:12], v2, s[34:35] offset:40
	global_load_dwordx4 v[7:10], v2, s[34:35]
	v_readfirstlane_b32 s23, v4
	v_readfirstlane_b32 s22, v3
	s_mov_b64 s[24:25], exec
	s_waitcnt vmcnt(1)
	v_readfirstlane_b32 s28, v11
	v_readfirstlane_b32 s29, v12
	s_and_b64 s[28:29], s[28:29], s[22:23]
	s_mul_i32 s30, s29, 24
	s_mul_hi_u32 s31, s28, 24
	s_mul_i32 s52, s28, 24
	s_add_i32 s30, s31, s30
	v_mov_b32_e32 v1, s30
	s_waitcnt vmcnt(0)
	v_add_co_u32_e32 v11, vcc, s52, v7
	v_addc_co_u32_e32 v12, vcc, v8, v1, vcc
	s_and_saveexec_b64 s[30:31], s[4:5]
	s_cbranch_execz .LBB5_288
; %bb.287:                              ;   in Loop: Header=BB5_280 Depth=1
	v_mov_b32_e32 v3, s24
	v_mov_b32_e32 v4, s25
	global_store_dwordx4 v[11:12], v[3:6], off offset:8
.LBB5_288:                              ;   in Loop: Header=BB5_280 Depth=1
	s_or_b64 exec, exec, s[30:31]
	s_lshl_b64 s[24:25], s[28:29], 12
	v_mov_b32_e32 v1, s25
	v_add_co_u32_e32 v13, vcc, s24, v9
	v_addc_co_u32_e32 v14, vcc, v10, v1, vcc
	v_mov_b32_e32 v18, s11
	v_mov_b32_e32 v1, v2
	;; [unrolled: 1-line block ×3, first 2 shown]
	v_readfirstlane_b32 s24, v13
	v_readfirstlane_b32 s25, v14
	v_mov_b32_e32 v17, s10
	v_mov_b32_e32 v16, s9
	;; [unrolled: 1-line block ×3, first 2 shown]
	s_nop 1
	global_store_dwordx4 v44, v[0:3], s[24:25]
	global_store_dwordx4 v44, v[15:18], s[24:25] offset:16
	global_store_dwordx4 v44, v[15:18], s[24:25] offset:32
	;; [unrolled: 1-line block ×3, first 2 shown]
	s_and_saveexec_b64 s[24:25], s[4:5]
	s_cbranch_execz .LBB5_296
; %bb.289:                              ;   in Loop: Header=BB5_280 Depth=1
	global_load_dwordx2 v[17:18], v2, s[34:35] offset:32 glc
	global_load_dwordx2 v[3:4], v2, s[34:35] offset:40
	v_mov_b32_e32 v15, s22
	v_mov_b32_e32 v16, s23
	s_waitcnt vmcnt(0)
	v_readfirstlane_b32 s28, v3
	v_readfirstlane_b32 s29, v4
	s_and_b64 s[28:29], s[28:29], s[22:23]
	s_mul_i32 s29, s29, 24
	s_mul_hi_u32 s30, s28, 24
	s_mul_i32 s28, s28, 24
	s_add_i32 s29, s30, s29
	v_mov_b32_e32 v1, s29
	v_add_co_u32_e32 v3, vcc, s28, v7
	v_addc_co_u32_e32 v4, vcc, v8, v1, vcc
	global_store_dwordx2 v[3:4], v[17:18], off
	s_waitcnt vmcnt(0)
	global_atomic_cmpswap_x2 v[9:10], v2, v[15:18], s[34:35] offset:32 glc
	s_waitcnt vmcnt(0)
	v_cmp_ne_u64_e32 vcc, v[9:10], v[17:18]
	s_and_saveexec_b64 s[28:29], vcc
	s_cbranch_execz .LBB5_292
; %bb.290:                              ;   in Loop: Header=BB5_280 Depth=1
	s_mov_b64 s[30:31], 0
.LBB5_291:                              ;   Parent Loop BB5_280 Depth=1
                                        ; =>  This Inner Loop Header: Depth=2
	s_sleep 1
	global_store_dwordx2 v[3:4], v[9:10], off
	v_mov_b32_e32 v7, s22
	v_mov_b32_e32 v8, s23
	s_waitcnt vmcnt(0)
	global_atomic_cmpswap_x2 v[7:8], v2, v[7:10], s[34:35] offset:32 glc
	s_waitcnt vmcnt(0)
	v_cmp_eq_u64_e32 vcc, v[7:8], v[9:10]
	v_mov_b32_e32 v10, v8
	s_or_b64 s[30:31], vcc, s[30:31]
	v_mov_b32_e32 v9, v7
	s_andn2_b64 exec, exec, s[30:31]
	s_cbranch_execnz .LBB5_291
.LBB5_292:                              ;   in Loop: Header=BB5_280 Depth=1
	s_or_b64 exec, exec, s[28:29]
	global_load_dwordx2 v[3:4], v2, s[34:35] offset:16
	s_mov_b64 s[30:31], exec
	v_mbcnt_lo_u32_b32 v1, s30, 0
	v_mbcnt_hi_u32_b32 v1, s31, v1
	v_cmp_eq_u32_e32 vcc, 0, v1
	s_and_saveexec_b64 s[28:29], vcc
	s_cbranch_execz .LBB5_294
; %bb.293:                              ;   in Loop: Header=BB5_280 Depth=1
	s_bcnt1_i32_b64 s30, s[30:31]
	v_mov_b32_e32 v1, s30
	s_waitcnt vmcnt(0)
	global_atomic_add_x2 v[3:4], v[1:2], off offset:8
.LBB5_294:                              ;   in Loop: Header=BB5_280 Depth=1
	s_or_b64 exec, exec, s[28:29]
	s_waitcnt vmcnt(0)
	global_load_dwordx2 v[7:8], v[3:4], off offset:16
	s_waitcnt vmcnt(0)
	v_cmp_eq_u64_e32 vcc, 0, v[7:8]
	s_cbranch_vccnz .LBB5_296
; %bb.295:                              ;   in Loop: Header=BB5_280 Depth=1
	global_load_dword v1, v[3:4], off offset:24
	s_waitcnt vmcnt(0)
	v_readfirstlane_b32 s28, v1
	s_and_b32 m0, s28, 0xffffff
	global_store_dwordx2 v[7:8], v[1:2], off
	s_sendmsg sendmsg(MSG_INTERRUPT)
.LBB5_296:                              ;   in Loop: Header=BB5_280 Depth=1
	s_or_b64 exec, exec, s[24:25]
	v_add_co_u32_e32 v3, vcc, v13, v44
	v_addc_co_u32_e32 v4, vcc, 0, v14, vcc
	s_branch .LBB5_300
.LBB5_297:                              ;   in Loop: Header=BB5_300 Depth=2
	s_or_b64 exec, exec, s[24:25]
	v_readfirstlane_b32 s24, v1
	s_cmp_eq_u32 s24, 0
	s_cbranch_scc1 .LBB5_299
; %bb.298:                              ;   in Loop: Header=BB5_300 Depth=2
	s_sleep 1
	s_cbranch_execnz .LBB5_300
	s_branch .LBB5_302
.LBB5_299:                              ;   in Loop: Header=BB5_280 Depth=1
	s_branch .LBB5_302
.LBB5_300:                              ;   Parent Loop BB5_280 Depth=1
                                        ; =>  This Inner Loop Header: Depth=2
	v_mov_b32_e32 v1, 1
	s_and_saveexec_b64 s[24:25], s[4:5]
	s_cbranch_execz .LBB5_297
; %bb.301:                              ;   in Loop: Header=BB5_300 Depth=2
	global_load_dword v1, v[11:12], off offset:20 glc
	s_waitcnt vmcnt(0)
	buffer_wbinvl1_vol
	v_and_b32_e32 v1, 1, v1
	s_branch .LBB5_297
.LBB5_302:                              ;   in Loop: Header=BB5_280 Depth=1
	global_load_dwordx2 v[7:8], v[3:4], off
	s_and_saveexec_b64 s[24:25], s[4:5]
	s_cbranch_execz .LBB5_306
; %bb.303:                              ;   in Loop: Header=BB5_280 Depth=1
	global_load_dwordx2 v[3:4], v2, s[34:35] offset:40
	global_load_dwordx2 v[13:14], v2, s[34:35] offset:24 glc
	global_load_dwordx2 v[9:10], v2, s[34:35]
	s_waitcnt vmcnt(2)
	v_readfirstlane_b32 s28, v3
	v_readfirstlane_b32 s29, v4
	s_add_u32 s30, s28, 1
	s_addc_u32 s31, s29, 0
	s_add_u32 s4, s30, s22
	s_addc_u32 s5, s31, s23
	s_cmp_eq_u64 s[4:5], 0
	s_cselect_b32 s5, s31, s5
	s_cselect_b32 s4, s30, s4
	s_and_b64 s[22:23], s[4:5], s[28:29]
	s_mul_i32 s23, s23, 24
	s_mul_hi_u32 s28, s22, 24
	s_mul_i32 s22, s22, 24
	s_add_i32 s23, s28, s23
	v_mov_b32_e32 v1, s23
	s_waitcnt vmcnt(0)
	v_add_co_u32_e32 v3, vcc, s22, v9
	v_addc_co_u32_e32 v4, vcc, v10, v1, vcc
	v_mov_b32_e32 v11, s4
	global_store_dwordx2 v[3:4], v[13:14], off
	v_mov_b32_e32 v12, s5
	s_waitcnt vmcnt(0)
	global_atomic_cmpswap_x2 v[11:12], v2, v[11:14], s[34:35] offset:24 glc
	s_waitcnt vmcnt(0)
	v_cmp_ne_u64_e32 vcc, v[11:12], v[13:14]
	s_and_b64 exec, exec, vcc
	s_cbranch_execz .LBB5_306
; %bb.304:                              ;   in Loop: Header=BB5_280 Depth=1
	s_mov_b64 s[22:23], 0
.LBB5_305:                              ;   Parent Loop BB5_280 Depth=1
                                        ; =>  This Inner Loop Header: Depth=2
	s_sleep 1
	global_store_dwordx2 v[3:4], v[11:12], off
	v_mov_b32_e32 v9, s4
	v_mov_b32_e32 v10, s5
	s_waitcnt vmcnt(0)
	global_atomic_cmpswap_x2 v[9:10], v2, v[9:12], s[34:35] offset:24 glc
	s_waitcnt vmcnt(0)
	v_cmp_eq_u64_e32 vcc, v[9:10], v[11:12]
	v_mov_b32_e32 v12, v10
	s_or_b64 s[22:23], vcc, s[22:23]
	v_mov_b32_e32 v11, v9
	s_andn2_b64 exec, exec, s[22:23]
	s_cbranch_execnz .LBB5_305
.LBB5_306:                              ;   in Loop: Header=BB5_280 Depth=1
	s_or_b64 exec, exec, s[24:25]
	s_and_b64 vcc, exec, s[6:7]
	s_cbranch_vccz .LBB5_392
; %bb.307:                              ;   in Loop: Header=BB5_280 Depth=1
	s_waitcnt vmcnt(0)
	v_and_b32_e32 v31, 2, v7
	v_and_b32_e32 v9, -3, v7
	v_mov_b32_e32 v10, v8
	s_mov_b64 s[24:25], 4
	s_getpc_b64 s[22:23]
	s_add_u32 s22, s22, .str.2@rel32@lo+4
	s_addc_u32 s23, s23, .str.2@rel32@hi+12
	s_branch .LBB5_309
.LBB5_308:                              ;   in Loop: Header=BB5_309 Depth=2
	s_or_b64 exec, exec, s[52:53]
	s_sub_u32 s24, s24, s28
	s_subb_u32 s25, s25, s29
	s_add_u32 s22, s22, s28
	s_addc_u32 s23, s23, s29
	s_cmp_lg_u64 s[24:25], 0
	s_cbranch_scc0 .LBB5_391
.LBB5_309:                              ;   Parent Loop BB5_280 Depth=1
                                        ; =>  This Loop Header: Depth=2
                                        ;       Child Loop BB5_312 Depth 3
                                        ;       Child Loop BB5_320 Depth 3
	;; [unrolled: 1-line block ×11, first 2 shown]
	v_cmp_lt_u64_e64 s[4:5], s[24:25], 56
	v_cmp_gt_u64_e64 s[30:31], s[24:25], 7
	s_and_b64 s[4:5], s[4:5], exec
	s_cselect_b32 s29, s25, 0
	s_cselect_b32 s28, s24, 56
	s_add_u32 s4, s22, 8
	s_addc_u32 s5, s23, 0
	s_and_b64 vcc, exec, s[30:31]
	s_cbranch_vccnz .LBB5_313
; %bb.310:                              ;   in Loop: Header=BB5_309 Depth=2
	s_cmp_eq_u64 s[24:25], 0
	s_cbranch_scc1 .LBB5_314
; %bb.311:                              ;   in Loop: Header=BB5_309 Depth=2
	v_mov_b32_e32 v11, 0
	s_lshl_b64 s[4:5], s[28:29], 3
	s_mov_b64 s[30:31], 0
	v_mov_b32_e32 v12, 0
	s_mov_b64 s[52:53], s[22:23]
.LBB5_312:                              ;   Parent Loop BB5_280 Depth=1
                                        ;     Parent Loop BB5_309 Depth=2
                                        ; =>    This Inner Loop Header: Depth=3
	global_load_ubyte v1, v2, s[52:53]
	s_waitcnt vmcnt(0)
	v_and_b32_e32 v1, 0xffff, v1
	v_lshlrev_b64 v[3:4], s30, v[1:2]
	s_add_u32 s30, s30, 8
	s_addc_u32 s31, s31, 0
	s_add_u32 s52, s52, 1
	s_addc_u32 s53, s53, 0
	v_or_b32_e32 v11, v3, v11
	s_cmp_lg_u32 s4, s30
	v_or_b32_e32 v12, v4, v12
	s_cbranch_scc1 .LBB5_312
	s_branch .LBB5_315
.LBB5_313:                              ;   in Loop: Header=BB5_309 Depth=2
	s_mov_b32 s54, 0
	s_branch .LBB5_316
.LBB5_314:                              ;   in Loop: Header=BB5_309 Depth=2
	v_mov_b32_e32 v11, 0
	v_mov_b32_e32 v12, 0
.LBB5_315:                              ;   in Loop: Header=BB5_309 Depth=2
	s_mov_b64 s[4:5], s[22:23]
	s_mov_b32 s54, 0
	s_cbranch_execnz .LBB5_317
.LBB5_316:                              ;   in Loop: Header=BB5_309 Depth=2
	global_load_dwordx2 v[11:12], v2, s[22:23]
	s_add_i32 s54, s28, -8
.LBB5_317:                              ;   in Loop: Header=BB5_309 Depth=2
	s_add_u32 s30, s4, 8
	s_addc_u32 s31, s5, 0
	s_cmp_gt_u32 s54, 7
	s_cbranch_scc1 .LBB5_321
; %bb.318:                              ;   in Loop: Header=BB5_309 Depth=2
	s_cmp_eq_u32 s54, 0
	s_cbranch_scc1 .LBB5_322
; %bb.319:                              ;   in Loop: Header=BB5_309 Depth=2
	v_mov_b32_e32 v13, 0
	s_mov_b64 s[30:31], 0
	v_mov_b32_e32 v14, 0
	s_mov_b64 s[52:53], 0
.LBB5_320:                              ;   Parent Loop BB5_280 Depth=1
                                        ;     Parent Loop BB5_309 Depth=2
                                        ; =>    This Inner Loop Header: Depth=3
	s_add_u32 s56, s4, s52
	s_addc_u32 s57, s5, s53
	global_load_ubyte v1, v2, s[56:57]
	s_add_u32 s52, s52, 1
	s_addc_u32 s53, s53, 0
	s_waitcnt vmcnt(0)
	v_and_b32_e32 v1, 0xffff, v1
	v_lshlrev_b64 v[3:4], s30, v[1:2]
	s_add_u32 s30, s30, 8
	s_addc_u32 s31, s31, 0
	v_or_b32_e32 v13, v3, v13
	s_cmp_lg_u32 s54, s52
	v_or_b32_e32 v14, v4, v14
	s_cbranch_scc1 .LBB5_320
	s_branch .LBB5_323
.LBB5_321:                              ;   in Loop: Header=BB5_309 Depth=2
                                        ; implicit-def: $vgpr13_vgpr14
	s_mov_b32 s55, 0
	s_branch .LBB5_324
.LBB5_322:                              ;   in Loop: Header=BB5_309 Depth=2
	v_mov_b32_e32 v13, 0
	v_mov_b32_e32 v14, 0
.LBB5_323:                              ;   in Loop: Header=BB5_309 Depth=2
	s_mov_b64 s[30:31], s[4:5]
	s_mov_b32 s55, 0
	s_cbranch_execnz .LBB5_325
.LBB5_324:                              ;   in Loop: Header=BB5_309 Depth=2
	global_load_dwordx2 v[13:14], v2, s[4:5]
	s_add_i32 s55, s54, -8
.LBB5_325:                              ;   in Loop: Header=BB5_309 Depth=2
	s_add_u32 s4, s30, 8
	s_addc_u32 s5, s31, 0
	s_cmp_gt_u32 s55, 7
	s_cbranch_scc1 .LBB5_329
; %bb.326:                              ;   in Loop: Header=BB5_309 Depth=2
	s_cmp_eq_u32 s55, 0
	s_cbranch_scc1 .LBB5_330
; %bb.327:                              ;   in Loop: Header=BB5_309 Depth=2
	v_mov_b32_e32 v15, 0
	s_mov_b64 s[4:5], 0
	v_mov_b32_e32 v16, 0
	s_mov_b64 s[52:53], 0
.LBB5_328:                              ;   Parent Loop BB5_280 Depth=1
                                        ;     Parent Loop BB5_309 Depth=2
                                        ; =>    This Inner Loop Header: Depth=3
	s_add_u32 s56, s30, s52
	s_addc_u32 s57, s31, s53
	global_load_ubyte v1, v2, s[56:57]
	s_add_u32 s52, s52, 1
	s_addc_u32 s53, s53, 0
	s_waitcnt vmcnt(0)
	v_and_b32_e32 v1, 0xffff, v1
	v_lshlrev_b64 v[3:4], s4, v[1:2]
	s_add_u32 s4, s4, 8
	s_addc_u32 s5, s5, 0
	v_or_b32_e32 v15, v3, v15
	s_cmp_lg_u32 s55, s52
	v_or_b32_e32 v16, v4, v16
	s_cbranch_scc1 .LBB5_328
	s_branch .LBB5_331
.LBB5_329:                              ;   in Loop: Header=BB5_309 Depth=2
	s_mov_b32 s54, 0
	s_branch .LBB5_332
.LBB5_330:                              ;   in Loop: Header=BB5_309 Depth=2
	v_mov_b32_e32 v15, 0
	v_mov_b32_e32 v16, 0
.LBB5_331:                              ;   in Loop: Header=BB5_309 Depth=2
	s_mov_b64 s[4:5], s[30:31]
	s_mov_b32 s54, 0
	s_cbranch_execnz .LBB5_333
.LBB5_332:                              ;   in Loop: Header=BB5_309 Depth=2
	global_load_dwordx2 v[15:16], v2, s[30:31]
	s_add_i32 s54, s55, -8
.LBB5_333:                              ;   in Loop: Header=BB5_309 Depth=2
	s_add_u32 s30, s4, 8
	s_addc_u32 s31, s5, 0
	s_cmp_gt_u32 s54, 7
	s_cbranch_scc1 .LBB5_337
; %bb.334:                              ;   in Loop: Header=BB5_309 Depth=2
	s_cmp_eq_u32 s54, 0
	s_cbranch_scc1 .LBB5_338
; %bb.335:                              ;   in Loop: Header=BB5_309 Depth=2
	v_mov_b32_e32 v17, 0
	s_mov_b64 s[30:31], 0
	v_mov_b32_e32 v18, 0
	s_mov_b64 s[52:53], 0
.LBB5_336:                              ;   Parent Loop BB5_280 Depth=1
                                        ;     Parent Loop BB5_309 Depth=2
                                        ; =>    This Inner Loop Header: Depth=3
	s_add_u32 s56, s4, s52
	s_addc_u32 s57, s5, s53
	global_load_ubyte v1, v2, s[56:57]
	s_add_u32 s52, s52, 1
	s_addc_u32 s53, s53, 0
	s_waitcnt vmcnt(0)
	v_and_b32_e32 v1, 0xffff, v1
	v_lshlrev_b64 v[3:4], s30, v[1:2]
	s_add_u32 s30, s30, 8
	s_addc_u32 s31, s31, 0
	v_or_b32_e32 v17, v3, v17
	s_cmp_lg_u32 s54, s52
	v_or_b32_e32 v18, v4, v18
	s_cbranch_scc1 .LBB5_336
	s_branch .LBB5_339
.LBB5_337:                              ;   in Loop: Header=BB5_309 Depth=2
                                        ; implicit-def: $vgpr17_vgpr18
	s_mov_b32 s55, 0
	s_branch .LBB5_340
.LBB5_338:                              ;   in Loop: Header=BB5_309 Depth=2
	v_mov_b32_e32 v17, 0
	v_mov_b32_e32 v18, 0
.LBB5_339:                              ;   in Loop: Header=BB5_309 Depth=2
	s_mov_b64 s[30:31], s[4:5]
	s_mov_b32 s55, 0
	s_cbranch_execnz .LBB5_341
.LBB5_340:                              ;   in Loop: Header=BB5_309 Depth=2
	global_load_dwordx2 v[17:18], v2, s[4:5]
	s_add_i32 s55, s54, -8
.LBB5_341:                              ;   in Loop: Header=BB5_309 Depth=2
	s_add_u32 s4, s30, 8
	s_addc_u32 s5, s31, 0
	s_cmp_gt_u32 s55, 7
	s_cbranch_scc1 .LBB5_345
; %bb.342:                              ;   in Loop: Header=BB5_309 Depth=2
	s_cmp_eq_u32 s55, 0
	s_cbranch_scc1 .LBB5_346
; %bb.343:                              ;   in Loop: Header=BB5_309 Depth=2
	v_mov_b32_e32 v19, 0
	s_mov_b64 s[4:5], 0
	v_mov_b32_e32 v20, 0
	s_mov_b64 s[52:53], 0
.LBB5_344:                              ;   Parent Loop BB5_280 Depth=1
                                        ;     Parent Loop BB5_309 Depth=2
                                        ; =>    This Inner Loop Header: Depth=3
	s_add_u32 s56, s30, s52
	s_addc_u32 s57, s31, s53
	global_load_ubyte v1, v2, s[56:57]
	s_add_u32 s52, s52, 1
	s_addc_u32 s53, s53, 0
	s_waitcnt vmcnt(0)
	v_and_b32_e32 v1, 0xffff, v1
	v_lshlrev_b64 v[3:4], s4, v[1:2]
	s_add_u32 s4, s4, 8
	s_addc_u32 s5, s5, 0
	v_or_b32_e32 v19, v3, v19
	s_cmp_lg_u32 s55, s52
	v_or_b32_e32 v20, v4, v20
	s_cbranch_scc1 .LBB5_344
	s_branch .LBB5_347
.LBB5_345:                              ;   in Loop: Header=BB5_309 Depth=2
	s_mov_b32 s54, 0
	s_branch .LBB5_348
.LBB5_346:                              ;   in Loop: Header=BB5_309 Depth=2
	v_mov_b32_e32 v19, 0
	v_mov_b32_e32 v20, 0
.LBB5_347:                              ;   in Loop: Header=BB5_309 Depth=2
	s_mov_b64 s[4:5], s[30:31]
	s_mov_b32 s54, 0
	s_cbranch_execnz .LBB5_349
.LBB5_348:                              ;   in Loop: Header=BB5_309 Depth=2
	global_load_dwordx2 v[19:20], v2, s[30:31]
	s_add_i32 s54, s55, -8
.LBB5_349:                              ;   in Loop: Header=BB5_309 Depth=2
	s_add_u32 s30, s4, 8
	s_addc_u32 s31, s5, 0
	s_cmp_gt_u32 s54, 7
	s_cbranch_scc1 .LBB5_353
; %bb.350:                              ;   in Loop: Header=BB5_309 Depth=2
	s_cmp_eq_u32 s54, 0
	s_cbranch_scc1 .LBB5_354
; %bb.351:                              ;   in Loop: Header=BB5_309 Depth=2
	v_mov_b32_e32 v21, 0
	s_mov_b64 s[30:31], 0
	v_mov_b32_e32 v22, 0
	s_mov_b64 s[52:53], 0
.LBB5_352:                              ;   Parent Loop BB5_280 Depth=1
                                        ;     Parent Loop BB5_309 Depth=2
                                        ; =>    This Inner Loop Header: Depth=3
	s_add_u32 s56, s4, s52
	s_addc_u32 s57, s5, s53
	global_load_ubyte v1, v2, s[56:57]
	s_add_u32 s52, s52, 1
	s_addc_u32 s53, s53, 0
	s_waitcnt vmcnt(0)
	v_and_b32_e32 v1, 0xffff, v1
	v_lshlrev_b64 v[3:4], s30, v[1:2]
	s_add_u32 s30, s30, 8
	s_addc_u32 s31, s31, 0
	v_or_b32_e32 v21, v3, v21
	s_cmp_lg_u32 s54, s52
	v_or_b32_e32 v22, v4, v22
	s_cbranch_scc1 .LBB5_352
	s_branch .LBB5_355
.LBB5_353:                              ;   in Loop: Header=BB5_309 Depth=2
                                        ; implicit-def: $vgpr21_vgpr22
	s_mov_b32 s55, 0
	s_branch .LBB5_356
.LBB5_354:                              ;   in Loop: Header=BB5_309 Depth=2
	v_mov_b32_e32 v21, 0
	v_mov_b32_e32 v22, 0
.LBB5_355:                              ;   in Loop: Header=BB5_309 Depth=2
	s_mov_b64 s[30:31], s[4:5]
	s_mov_b32 s55, 0
	s_cbranch_execnz .LBB5_357
.LBB5_356:                              ;   in Loop: Header=BB5_309 Depth=2
	global_load_dwordx2 v[21:22], v2, s[4:5]
	s_add_i32 s55, s54, -8
.LBB5_357:                              ;   in Loop: Header=BB5_309 Depth=2
	s_cmp_gt_u32 s55, 7
	s_cbranch_scc1 .LBB5_361
; %bb.358:                              ;   in Loop: Header=BB5_309 Depth=2
	s_cmp_eq_u32 s55, 0
	s_cbranch_scc1 .LBB5_362
; %bb.359:                              ;   in Loop: Header=BB5_309 Depth=2
	v_mov_b32_e32 v23, 0
	s_mov_b64 s[4:5], 0
	v_mov_b32_e32 v24, 0
	s_mov_b64 s[52:53], s[30:31]
.LBB5_360:                              ;   Parent Loop BB5_280 Depth=1
                                        ;     Parent Loop BB5_309 Depth=2
                                        ; =>    This Inner Loop Header: Depth=3
	global_load_ubyte v1, v2, s[52:53]
	s_add_i32 s55, s55, -1
	s_waitcnt vmcnt(0)
	v_and_b32_e32 v1, 0xffff, v1
	v_lshlrev_b64 v[3:4], s4, v[1:2]
	s_add_u32 s4, s4, 8
	s_addc_u32 s5, s5, 0
	s_add_u32 s52, s52, 1
	s_addc_u32 s53, s53, 0
	v_or_b32_e32 v23, v3, v23
	s_cmp_lg_u32 s55, 0
	v_or_b32_e32 v24, v4, v24
	s_cbranch_scc1 .LBB5_360
	s_branch .LBB5_363
.LBB5_361:                              ;   in Loop: Header=BB5_309 Depth=2
	s_branch .LBB5_364
.LBB5_362:                              ;   in Loop: Header=BB5_309 Depth=2
	v_mov_b32_e32 v23, 0
	v_mov_b32_e32 v24, 0
.LBB5_363:                              ;   in Loop: Header=BB5_309 Depth=2
	s_cbranch_execnz .LBB5_365
.LBB5_364:                              ;   in Loop: Header=BB5_309 Depth=2
	global_load_dwordx2 v[23:24], v2, s[30:31]
.LBB5_365:                              ;   in Loop: Header=BB5_309 Depth=2
	v_readfirstlane_b32 s4, v45
	v_mov_b32_e32 v3, 0
	v_mov_b32_e32 v4, 0
	v_cmp_eq_u32_e64 s[4:5], s4, v45
	s_and_saveexec_b64 s[30:31], s[4:5]
	s_cbranch_execz .LBB5_371
; %bb.366:                              ;   in Loop: Header=BB5_309 Depth=2
	global_load_dwordx2 v[27:28], v2, s[34:35] offset:24 glc
	s_waitcnt vmcnt(0)
	buffer_wbinvl1_vol
	global_load_dwordx2 v[3:4], v2, s[34:35] offset:40
	global_load_dwordx2 v[25:26], v2, s[34:35]
	s_waitcnt vmcnt(1)
	v_and_b32_e32 v1, v3, v27
	v_and_b32_e32 v3, v4, v28
	v_mul_lo_u32 v3, v3, 24
	v_mul_hi_u32 v4, v1, 24
	v_mul_lo_u32 v1, v1, 24
	v_add_u32_e32 v4, v4, v3
	s_waitcnt vmcnt(0)
	v_add_co_u32_e32 v3, vcc, v25, v1
	v_addc_co_u32_e32 v4, vcc, v26, v4, vcc
	global_load_dwordx2 v[25:26], v[3:4], off glc
	s_waitcnt vmcnt(0)
	global_atomic_cmpswap_x2 v[3:4], v2, v[25:28], s[34:35] offset:24 glc
	s_waitcnt vmcnt(0)
	buffer_wbinvl1_vol
	v_cmp_ne_u64_e32 vcc, v[3:4], v[27:28]
	s_and_saveexec_b64 s[52:53], vcc
	s_cbranch_execz .LBB5_370
; %bb.367:                              ;   in Loop: Header=BB5_309 Depth=2
	s_mov_b64 s[54:55], 0
.LBB5_368:                              ;   Parent Loop BB5_280 Depth=1
                                        ;     Parent Loop BB5_309 Depth=2
                                        ; =>    This Inner Loop Header: Depth=3
	s_sleep 1
	global_load_dwordx2 v[25:26], v2, s[34:35] offset:40
	global_load_dwordx2 v[29:30], v2, s[34:35]
	v_mov_b32_e32 v28, v4
	v_mov_b32_e32 v27, v3
	s_waitcnt vmcnt(1)
	v_and_b32_e32 v1, v25, v27
	s_waitcnt vmcnt(0)
	v_mad_u64_u32 v[3:4], s[56:57], v1, 24, v[29:30]
	v_and_b32_e32 v25, v26, v28
	v_mov_b32_e32 v1, v4
	v_mad_u64_u32 v[25:26], s[56:57], v25, 24, v[1:2]
	v_mov_b32_e32 v4, v25
	global_load_dwordx2 v[25:26], v[3:4], off glc
	s_waitcnt vmcnt(0)
	global_atomic_cmpswap_x2 v[3:4], v2, v[25:28], s[34:35] offset:24 glc
	s_waitcnt vmcnt(0)
	buffer_wbinvl1_vol
	v_cmp_eq_u64_e32 vcc, v[3:4], v[27:28]
	s_or_b64 s[54:55], vcc, s[54:55]
	s_andn2_b64 exec, exec, s[54:55]
	s_cbranch_execnz .LBB5_368
; %bb.369:                              ;   in Loop: Header=BB5_309 Depth=2
	s_or_b64 exec, exec, s[54:55]
.LBB5_370:                              ;   in Loop: Header=BB5_309 Depth=2
	s_or_b64 exec, exec, s[52:53]
.LBB5_371:                              ;   in Loop: Header=BB5_309 Depth=2
	s_or_b64 exec, exec, s[30:31]
	global_load_dwordx2 v[29:30], v2, s[34:35] offset:40
	global_load_dwordx4 v[25:28], v2, s[34:35]
	v_readfirstlane_b32 s31, v4
	v_readfirstlane_b32 s30, v3
	s_mov_b64 s[52:53], exec
	s_waitcnt vmcnt(1)
	v_readfirstlane_b32 s54, v29
	v_readfirstlane_b32 s55, v30
	s_and_b64 s[54:55], s[54:55], s[30:31]
	s_mul_i32 s56, s55, 24
	s_mul_hi_u32 s57, s54, 24
	s_mul_i32 s58, s54, 24
	s_add_i32 s56, s57, s56
	v_mov_b32_e32 v1, s56
	s_waitcnt vmcnt(0)
	v_add_co_u32_e32 v29, vcc, s58, v25
	v_addc_co_u32_e32 v30, vcc, v26, v1, vcc
	s_and_saveexec_b64 s[56:57], s[4:5]
	s_cbranch_execz .LBB5_373
; %bb.372:                              ;   in Loop: Header=BB5_309 Depth=2
	v_mov_b32_e32 v3, s52
	v_mov_b32_e32 v4, s53
	global_store_dwordx4 v[29:30], v[3:6], off offset:8
.LBB5_373:                              ;   in Loop: Header=BB5_309 Depth=2
	s_or_b64 exec, exec, s[56:57]
	s_lshl_b64 s[52:53], s[54:55], 12
	v_mov_b32_e32 v1, s53
	v_add_co_u32_e32 v27, vcc, s52, v27
	v_addc_co_u32_e32 v28, vcc, v28, v1, vcc
	v_cmp_lt_u64_e64 vcc, s[24:25], 57
	s_lshl_b32 s52, s28, 2
	v_cndmask_b32_e32 v1, 0, v31, vcc
	s_add_i32 s52, s52, 28
	v_and_b32_e32 v3, 0xffffff1f, v9
	s_and_b32 s52, s52, 0x1e0
	v_or_b32_e32 v1, v3, v1
	v_or_b32_e32 v9, s52, v1
	v_readfirstlane_b32 s52, v27
	v_readfirstlane_b32 s53, v28
	s_nop 4
	global_store_dwordx4 v44, v[9:12], s[52:53]
	global_store_dwordx4 v44, v[13:16], s[52:53] offset:16
	global_store_dwordx4 v44, v[17:20], s[52:53] offset:32
	;; [unrolled: 1-line block ×3, first 2 shown]
	s_and_saveexec_b64 s[52:53], s[4:5]
	s_cbranch_execz .LBB5_381
; %bb.374:                              ;   in Loop: Header=BB5_309 Depth=2
	global_load_dwordx2 v[13:14], v2, s[34:35] offset:32 glc
	global_load_dwordx2 v[3:4], v2, s[34:35] offset:40
	v_mov_b32_e32 v11, s30
	v_mov_b32_e32 v12, s31
	s_waitcnt vmcnt(0)
	v_readfirstlane_b32 s54, v3
	v_readfirstlane_b32 s55, v4
	s_and_b64 s[54:55], s[54:55], s[30:31]
	s_mul_i32 s55, s55, 24
	s_mul_hi_u32 s56, s54, 24
	s_mul_i32 s54, s54, 24
	s_add_i32 s55, s56, s55
	v_mov_b32_e32 v1, s55
	v_add_co_u32_e32 v3, vcc, s54, v25
	v_addc_co_u32_e32 v4, vcc, v26, v1, vcc
	global_store_dwordx2 v[3:4], v[13:14], off
	s_waitcnt vmcnt(0)
	global_atomic_cmpswap_x2 v[11:12], v2, v[11:14], s[34:35] offset:32 glc
	s_waitcnt vmcnt(0)
	v_cmp_ne_u64_e32 vcc, v[11:12], v[13:14]
	s_and_saveexec_b64 s[54:55], vcc
	s_cbranch_execz .LBB5_377
; %bb.375:                              ;   in Loop: Header=BB5_309 Depth=2
	s_mov_b64 s[56:57], 0
.LBB5_376:                              ;   Parent Loop BB5_280 Depth=1
                                        ;     Parent Loop BB5_309 Depth=2
                                        ; =>    This Inner Loop Header: Depth=3
	s_sleep 1
	global_store_dwordx2 v[3:4], v[11:12], off
	v_mov_b32_e32 v9, s30
	v_mov_b32_e32 v10, s31
	s_waitcnt vmcnt(0)
	global_atomic_cmpswap_x2 v[9:10], v2, v[9:12], s[34:35] offset:32 glc
	s_waitcnt vmcnt(0)
	v_cmp_eq_u64_e32 vcc, v[9:10], v[11:12]
	v_mov_b32_e32 v12, v10
	s_or_b64 s[56:57], vcc, s[56:57]
	v_mov_b32_e32 v11, v9
	s_andn2_b64 exec, exec, s[56:57]
	s_cbranch_execnz .LBB5_376
.LBB5_377:                              ;   in Loop: Header=BB5_309 Depth=2
	s_or_b64 exec, exec, s[54:55]
	global_load_dwordx2 v[3:4], v2, s[34:35] offset:16
	s_mov_b64 s[56:57], exec
	v_mbcnt_lo_u32_b32 v1, s56, 0
	v_mbcnt_hi_u32_b32 v1, s57, v1
	v_cmp_eq_u32_e32 vcc, 0, v1
	s_and_saveexec_b64 s[54:55], vcc
	s_cbranch_execz .LBB5_379
; %bb.378:                              ;   in Loop: Header=BB5_309 Depth=2
	s_bcnt1_i32_b64 s56, s[56:57]
	v_mov_b32_e32 v1, s56
	s_waitcnt vmcnt(0)
	global_atomic_add_x2 v[3:4], v[1:2], off offset:8
.LBB5_379:                              ;   in Loop: Header=BB5_309 Depth=2
	s_or_b64 exec, exec, s[54:55]
	s_waitcnt vmcnt(0)
	global_load_dwordx2 v[9:10], v[3:4], off offset:16
	s_waitcnt vmcnt(0)
	v_cmp_eq_u64_e32 vcc, 0, v[9:10]
	s_cbranch_vccnz .LBB5_381
; %bb.380:                              ;   in Loop: Header=BB5_309 Depth=2
	global_load_dword v1, v[3:4], off offset:24
	s_waitcnt vmcnt(0)
	v_readfirstlane_b32 s54, v1
	s_and_b32 m0, s54, 0xffffff
	global_store_dwordx2 v[9:10], v[1:2], off
	s_sendmsg sendmsg(MSG_INTERRUPT)
.LBB5_381:                              ;   in Loop: Header=BB5_309 Depth=2
	s_or_b64 exec, exec, s[52:53]
	v_add_co_u32_e32 v3, vcc, v27, v44
	v_addc_co_u32_e32 v4, vcc, 0, v28, vcc
	s_branch .LBB5_385
.LBB5_382:                              ;   in Loop: Header=BB5_385 Depth=3
	s_or_b64 exec, exec, s[52:53]
	v_readfirstlane_b32 s52, v1
	s_cmp_eq_u32 s52, 0
	s_cbranch_scc1 .LBB5_384
; %bb.383:                              ;   in Loop: Header=BB5_385 Depth=3
	s_sleep 1
	s_cbranch_execnz .LBB5_385
	s_branch .LBB5_387
.LBB5_384:                              ;   in Loop: Header=BB5_309 Depth=2
	s_branch .LBB5_387
.LBB5_385:                              ;   Parent Loop BB5_280 Depth=1
                                        ;     Parent Loop BB5_309 Depth=2
                                        ; =>    This Inner Loop Header: Depth=3
	v_mov_b32_e32 v1, 1
	s_and_saveexec_b64 s[52:53], s[4:5]
	s_cbranch_execz .LBB5_382
; %bb.386:                              ;   in Loop: Header=BB5_385 Depth=3
	global_load_dword v1, v[29:30], off offset:20 glc
	s_waitcnt vmcnt(0)
	buffer_wbinvl1_vol
	v_and_b32_e32 v1, 1, v1
	s_branch .LBB5_382
.LBB5_387:                              ;   in Loop: Header=BB5_309 Depth=2
	global_load_dwordx2 v[9:10], v[3:4], off
	s_and_saveexec_b64 s[52:53], s[4:5]
	s_cbranch_execz .LBB5_308
; %bb.388:                              ;   in Loop: Header=BB5_309 Depth=2
	global_load_dwordx2 v[3:4], v2, s[34:35] offset:40
	global_load_dwordx2 v[15:16], v2, s[34:35] offset:24 glc
	global_load_dwordx2 v[11:12], v2, s[34:35]
	s_waitcnt vmcnt(2)
	v_readfirstlane_b32 s54, v3
	v_readfirstlane_b32 s55, v4
	s_add_u32 s56, s54, 1
	s_addc_u32 s57, s55, 0
	s_add_u32 s4, s56, s30
	s_addc_u32 s5, s57, s31
	s_cmp_eq_u64 s[4:5], 0
	s_cselect_b32 s5, s57, s5
	s_cselect_b32 s4, s56, s4
	s_and_b64 s[30:31], s[4:5], s[54:55]
	s_mul_i32 s31, s31, 24
	s_mul_hi_u32 s54, s30, 24
	s_mul_i32 s30, s30, 24
	s_add_i32 s31, s54, s31
	v_mov_b32_e32 v1, s31
	s_waitcnt vmcnt(0)
	v_add_co_u32_e32 v3, vcc, s30, v11
	v_addc_co_u32_e32 v4, vcc, v12, v1, vcc
	v_mov_b32_e32 v13, s4
	global_store_dwordx2 v[3:4], v[15:16], off
	v_mov_b32_e32 v14, s5
	s_waitcnt vmcnt(0)
	global_atomic_cmpswap_x2 v[13:14], v2, v[13:16], s[34:35] offset:24 glc
	s_waitcnt vmcnt(0)
	v_cmp_ne_u64_e32 vcc, v[13:14], v[15:16]
	s_and_b64 exec, exec, vcc
	s_cbranch_execz .LBB5_308
; %bb.389:                              ;   in Loop: Header=BB5_309 Depth=2
	s_mov_b64 s[30:31], 0
.LBB5_390:                              ;   Parent Loop BB5_280 Depth=1
                                        ;     Parent Loop BB5_309 Depth=2
                                        ; =>    This Inner Loop Header: Depth=3
	s_sleep 1
	global_store_dwordx2 v[3:4], v[13:14], off
	v_mov_b32_e32 v11, s4
	v_mov_b32_e32 v12, s5
	s_waitcnt vmcnt(0)
	global_atomic_cmpswap_x2 v[11:12], v2, v[11:14], s[34:35] offset:24 glc
	s_waitcnt vmcnt(0)
	v_cmp_eq_u64_e32 vcc, v[11:12], v[13:14]
	v_mov_b32_e32 v14, v12
	s_or_b64 s[30:31], vcc, s[30:31]
	v_mov_b32_e32 v13, v11
	s_andn2_b64 exec, exec, s[30:31]
	s_cbranch_execnz .LBB5_390
	s_branch .LBB5_308
.LBB5_391:                              ;   in Loop: Header=BB5_280 Depth=1
	s_branch .LBB5_420
.LBB5_392:                              ;   in Loop: Header=BB5_280 Depth=1
                                        ; implicit-def: $vgpr9_vgpr10
	s_cbranch_execz .LBB5_420
; %bb.393:                              ;   in Loop: Header=BB5_280 Depth=1
	v_readfirstlane_b32 s4, v45
	v_mov_b32_e32 v3, 0
	v_mov_b32_e32 v4, 0
	v_cmp_eq_u32_e64 s[4:5], s4, v45
	s_and_saveexec_b64 s[22:23], s[4:5]
	s_cbranch_execz .LBB5_399
; %bb.394:                              ;   in Loop: Header=BB5_280 Depth=1
	global_load_dwordx2 v[11:12], v2, s[34:35] offset:24 glc
	s_waitcnt vmcnt(0)
	buffer_wbinvl1_vol
	global_load_dwordx2 v[3:4], v2, s[34:35] offset:40
	global_load_dwordx2 v[9:10], v2, s[34:35]
	s_waitcnt vmcnt(1)
	v_and_b32_e32 v1, v3, v11
	v_and_b32_e32 v3, v4, v12
	v_mul_lo_u32 v3, v3, 24
	v_mul_hi_u32 v4, v1, 24
	v_mul_lo_u32 v1, v1, 24
	v_add_u32_e32 v4, v4, v3
	s_waitcnt vmcnt(0)
	v_add_co_u32_e32 v3, vcc, v9, v1
	v_addc_co_u32_e32 v4, vcc, v10, v4, vcc
	global_load_dwordx2 v[9:10], v[3:4], off glc
	s_waitcnt vmcnt(0)
	global_atomic_cmpswap_x2 v[3:4], v2, v[9:12], s[34:35] offset:24 glc
	s_waitcnt vmcnt(0)
	buffer_wbinvl1_vol
	v_cmp_ne_u64_e32 vcc, v[3:4], v[11:12]
	s_and_saveexec_b64 s[24:25], vcc
	s_cbranch_execz .LBB5_398
; %bb.395:                              ;   in Loop: Header=BB5_280 Depth=1
	s_mov_b64 s[28:29], 0
.LBB5_396:                              ;   Parent Loop BB5_280 Depth=1
                                        ; =>  This Inner Loop Header: Depth=2
	s_sleep 1
	global_load_dwordx2 v[9:10], v2, s[34:35] offset:40
	global_load_dwordx2 v[13:14], v2, s[34:35]
	v_mov_b32_e32 v12, v4
	v_mov_b32_e32 v11, v3
	s_waitcnt vmcnt(1)
	v_and_b32_e32 v1, v9, v11
	s_waitcnt vmcnt(0)
	v_mad_u64_u32 v[3:4], s[30:31], v1, 24, v[13:14]
	v_and_b32_e32 v9, v10, v12
	v_mov_b32_e32 v1, v4
	v_mad_u64_u32 v[9:10], s[30:31], v9, 24, v[1:2]
	v_mov_b32_e32 v4, v9
	global_load_dwordx2 v[9:10], v[3:4], off glc
	s_waitcnt vmcnt(0)
	global_atomic_cmpswap_x2 v[3:4], v2, v[9:12], s[34:35] offset:24 glc
	s_waitcnt vmcnt(0)
	buffer_wbinvl1_vol
	v_cmp_eq_u64_e32 vcc, v[3:4], v[11:12]
	s_or_b64 s[28:29], vcc, s[28:29]
	s_andn2_b64 exec, exec, s[28:29]
	s_cbranch_execnz .LBB5_396
; %bb.397:                              ;   in Loop: Header=BB5_280 Depth=1
	s_or_b64 exec, exec, s[28:29]
.LBB5_398:                              ;   in Loop: Header=BB5_280 Depth=1
	s_or_b64 exec, exec, s[24:25]
.LBB5_399:                              ;   in Loop: Header=BB5_280 Depth=1
	s_or_b64 exec, exec, s[22:23]
	global_load_dwordx2 v[9:10], v2, s[34:35] offset:40
	global_load_dwordx4 v[11:14], v2, s[34:35]
	v_readfirstlane_b32 s23, v4
	v_readfirstlane_b32 s22, v3
	s_mov_b64 s[24:25], exec
	s_waitcnt vmcnt(1)
	v_readfirstlane_b32 s28, v9
	v_readfirstlane_b32 s29, v10
	s_and_b64 s[28:29], s[28:29], s[22:23]
	s_mul_i32 s30, s29, 24
	s_mul_hi_u32 s31, s28, 24
	s_mul_i32 s52, s28, 24
	s_add_i32 s30, s31, s30
	v_mov_b32_e32 v1, s30
	s_waitcnt vmcnt(0)
	v_add_co_u32_e32 v15, vcc, s52, v11
	v_addc_co_u32_e32 v16, vcc, v12, v1, vcc
	s_and_saveexec_b64 s[30:31], s[4:5]
	s_cbranch_execz .LBB5_401
; %bb.400:                              ;   in Loop: Header=BB5_280 Depth=1
	v_mov_b32_e32 v3, s24
	v_mov_b32_e32 v4, s25
	global_store_dwordx4 v[15:16], v[3:6], off offset:8
.LBB5_401:                              ;   in Loop: Header=BB5_280 Depth=1
	s_or_b64 exec, exec, s[30:31]
	s_lshl_b64 s[24:25], s[28:29], 12
	v_mov_b32_e32 v1, s25
	v_add_co_u32_e32 v13, vcc, s24, v13
	v_addc_co_u32_e32 v14, vcc, v14, v1, vcc
	v_and_or_b32 v7, v7, s33, 32
	v_mov_b32_e32 v9, v2
	v_mov_b32_e32 v10, v2
	v_readfirstlane_b32 s24, v13
	v_readfirstlane_b32 s25, v14
	s_nop 4
	global_store_dwordx4 v44, v[7:10], s[24:25]
	s_nop 0
	v_mov_b32_e32 v7, s8
	v_mov_b32_e32 v8, s9
	;; [unrolled: 1-line block ×4, first 2 shown]
	global_store_dwordx4 v44, v[7:10], s[24:25] offset:16
	global_store_dwordx4 v44, v[7:10], s[24:25] offset:32
	;; [unrolled: 1-line block ×3, first 2 shown]
	s_and_saveexec_b64 s[24:25], s[4:5]
	s_cbranch_execz .LBB5_409
; %bb.402:                              ;   in Loop: Header=BB5_280 Depth=1
	global_load_dwordx2 v[19:20], v2, s[34:35] offset:32 glc
	global_load_dwordx2 v[3:4], v2, s[34:35] offset:40
	v_mov_b32_e32 v17, s22
	v_mov_b32_e32 v18, s23
	s_waitcnt vmcnt(0)
	v_readfirstlane_b32 s28, v3
	v_readfirstlane_b32 s29, v4
	s_and_b64 s[28:29], s[28:29], s[22:23]
	s_mul_i32 s29, s29, 24
	s_mul_hi_u32 s30, s28, 24
	s_mul_i32 s28, s28, 24
	s_add_i32 s29, s30, s29
	v_mov_b32_e32 v1, s29
	v_add_co_u32_e32 v3, vcc, s28, v11
	v_addc_co_u32_e32 v4, vcc, v12, v1, vcc
	global_store_dwordx2 v[3:4], v[19:20], off
	s_waitcnt vmcnt(0)
	global_atomic_cmpswap_x2 v[9:10], v2, v[17:20], s[34:35] offset:32 glc
	s_waitcnt vmcnt(0)
	v_cmp_ne_u64_e32 vcc, v[9:10], v[19:20]
	s_and_saveexec_b64 s[28:29], vcc
	s_cbranch_execz .LBB5_405
; %bb.403:                              ;   in Loop: Header=BB5_280 Depth=1
	s_mov_b64 s[30:31], 0
.LBB5_404:                              ;   Parent Loop BB5_280 Depth=1
                                        ; =>  This Inner Loop Header: Depth=2
	s_sleep 1
	global_store_dwordx2 v[3:4], v[9:10], off
	v_mov_b32_e32 v7, s22
	v_mov_b32_e32 v8, s23
	s_waitcnt vmcnt(0)
	global_atomic_cmpswap_x2 v[7:8], v2, v[7:10], s[34:35] offset:32 glc
	s_waitcnt vmcnt(0)
	v_cmp_eq_u64_e32 vcc, v[7:8], v[9:10]
	v_mov_b32_e32 v10, v8
	s_or_b64 s[30:31], vcc, s[30:31]
	v_mov_b32_e32 v9, v7
	s_andn2_b64 exec, exec, s[30:31]
	s_cbranch_execnz .LBB5_404
.LBB5_405:                              ;   in Loop: Header=BB5_280 Depth=1
	s_or_b64 exec, exec, s[28:29]
	global_load_dwordx2 v[3:4], v2, s[34:35] offset:16
	s_mov_b64 s[30:31], exec
	v_mbcnt_lo_u32_b32 v1, s30, 0
	v_mbcnt_hi_u32_b32 v1, s31, v1
	v_cmp_eq_u32_e32 vcc, 0, v1
	s_and_saveexec_b64 s[28:29], vcc
	s_cbranch_execz .LBB5_407
; %bb.406:                              ;   in Loop: Header=BB5_280 Depth=1
	s_bcnt1_i32_b64 s30, s[30:31]
	v_mov_b32_e32 v1, s30
	s_waitcnt vmcnt(0)
	global_atomic_add_x2 v[3:4], v[1:2], off offset:8
.LBB5_407:                              ;   in Loop: Header=BB5_280 Depth=1
	s_or_b64 exec, exec, s[28:29]
	s_waitcnt vmcnt(0)
	global_load_dwordx2 v[7:8], v[3:4], off offset:16
	s_waitcnt vmcnt(0)
	v_cmp_eq_u64_e32 vcc, 0, v[7:8]
	s_cbranch_vccnz .LBB5_409
; %bb.408:                              ;   in Loop: Header=BB5_280 Depth=1
	global_load_dword v1, v[3:4], off offset:24
	s_waitcnt vmcnt(0)
	v_readfirstlane_b32 s28, v1
	s_and_b32 m0, s28, 0xffffff
	global_store_dwordx2 v[7:8], v[1:2], off
	s_sendmsg sendmsg(MSG_INTERRUPT)
.LBB5_409:                              ;   in Loop: Header=BB5_280 Depth=1
	s_or_b64 exec, exec, s[24:25]
	v_add_co_u32_e32 v3, vcc, v13, v44
	v_addc_co_u32_e32 v4, vcc, 0, v14, vcc
	s_branch .LBB5_413
.LBB5_410:                              ;   in Loop: Header=BB5_413 Depth=2
	s_or_b64 exec, exec, s[24:25]
	v_readfirstlane_b32 s24, v1
	s_cmp_eq_u32 s24, 0
	s_cbranch_scc1 .LBB5_412
; %bb.411:                              ;   in Loop: Header=BB5_413 Depth=2
	s_sleep 1
	s_cbranch_execnz .LBB5_413
	s_branch .LBB5_415
.LBB5_412:                              ;   in Loop: Header=BB5_280 Depth=1
	s_branch .LBB5_415
.LBB5_413:                              ;   Parent Loop BB5_280 Depth=1
                                        ; =>  This Inner Loop Header: Depth=2
	v_mov_b32_e32 v1, 1
	s_and_saveexec_b64 s[24:25], s[4:5]
	s_cbranch_execz .LBB5_410
; %bb.414:                              ;   in Loop: Header=BB5_413 Depth=2
	global_load_dword v1, v[15:16], off offset:20 glc
	s_waitcnt vmcnt(0)
	buffer_wbinvl1_vol
	v_and_b32_e32 v1, 1, v1
	s_branch .LBB5_410
.LBB5_415:                              ;   in Loop: Header=BB5_280 Depth=1
	global_load_dwordx2 v[9:10], v[3:4], off
	s_and_saveexec_b64 s[24:25], s[4:5]
	s_cbranch_execz .LBB5_419
; %bb.416:                              ;   in Loop: Header=BB5_280 Depth=1
	global_load_dwordx2 v[3:4], v2, s[34:35] offset:40
	global_load_dwordx2 v[15:16], v2, s[34:35] offset:24 glc
	global_load_dwordx2 v[7:8], v2, s[34:35]
	s_waitcnt vmcnt(2)
	v_readfirstlane_b32 s28, v3
	v_readfirstlane_b32 s29, v4
	s_add_u32 s30, s28, 1
	s_addc_u32 s31, s29, 0
	s_add_u32 s4, s30, s22
	s_addc_u32 s5, s31, s23
	s_cmp_eq_u64 s[4:5], 0
	s_cselect_b32 s5, s31, s5
	s_cselect_b32 s4, s30, s4
	s_and_b64 s[22:23], s[4:5], s[28:29]
	s_mul_i32 s23, s23, 24
	s_mul_hi_u32 s28, s22, 24
	s_mul_i32 s22, s22, 24
	s_add_i32 s23, s28, s23
	v_mov_b32_e32 v1, s23
	s_waitcnt vmcnt(0)
	v_add_co_u32_e32 v3, vcc, s22, v7
	v_addc_co_u32_e32 v4, vcc, v8, v1, vcc
	v_mov_b32_e32 v13, s4
	global_store_dwordx2 v[3:4], v[15:16], off
	v_mov_b32_e32 v14, s5
	s_waitcnt vmcnt(0)
	global_atomic_cmpswap_x2 v[13:14], v2, v[13:16], s[34:35] offset:24 glc
	s_waitcnt vmcnt(0)
	v_cmp_ne_u64_e32 vcc, v[13:14], v[15:16]
	s_and_b64 exec, exec, vcc
	s_cbranch_execz .LBB5_419
; %bb.417:                              ;   in Loop: Header=BB5_280 Depth=1
	s_mov_b64 s[22:23], 0
.LBB5_418:                              ;   Parent Loop BB5_280 Depth=1
                                        ; =>  This Inner Loop Header: Depth=2
	s_sleep 1
	global_store_dwordx2 v[3:4], v[13:14], off
	v_mov_b32_e32 v11, s4
	v_mov_b32_e32 v12, s5
	s_waitcnt vmcnt(0)
	global_atomic_cmpswap_x2 v[7:8], v2, v[11:14], s[34:35] offset:24 glc
	s_waitcnt vmcnt(0)
	v_cmp_eq_u64_e32 vcc, v[7:8], v[13:14]
	v_mov_b32_e32 v14, v8
	s_or_b64 s[22:23], vcc, s[22:23]
	v_mov_b32_e32 v13, v7
	s_andn2_b64 exec, exec, s[22:23]
	s_cbranch_execnz .LBB5_418
.LBB5_419:                              ;   in Loop: Header=BB5_280 Depth=1
	s_or_b64 exec, exec, s[24:25]
.LBB5_420:                              ;   in Loop: Header=BB5_280 Depth=1
	v_readfirstlane_b32 s4, v45
	v_mov_b32_e32 v3, 0
	v_mov_b32_e32 v4, 0
	v_cmp_eq_u32_e64 s[4:5], s4, v45
	s_and_saveexec_b64 s[22:23], s[4:5]
	s_cbranch_execz .LBB5_426
; %bb.421:                              ;   in Loop: Header=BB5_280 Depth=1
	global_load_dwordx2 v[13:14], v2, s[34:35] offset:24 glc
	s_waitcnt vmcnt(0)
	buffer_wbinvl1_vol
	global_load_dwordx2 v[3:4], v2, s[34:35] offset:40
	global_load_dwordx2 v[7:8], v2, s[34:35]
	s_waitcnt vmcnt(1)
	v_and_b32_e32 v1, v3, v13
	v_and_b32_e32 v3, v4, v14
	v_mul_lo_u32 v3, v3, 24
	v_mul_hi_u32 v4, v1, 24
	v_mul_lo_u32 v1, v1, 24
	v_add_u32_e32 v4, v4, v3
	s_waitcnt vmcnt(0)
	v_add_co_u32_e32 v3, vcc, v7, v1
	v_addc_co_u32_e32 v4, vcc, v8, v4, vcc
	global_load_dwordx2 v[11:12], v[3:4], off glc
	s_waitcnt vmcnt(0)
	global_atomic_cmpswap_x2 v[3:4], v2, v[11:14], s[34:35] offset:24 glc
	s_waitcnt vmcnt(0)
	buffer_wbinvl1_vol
	v_cmp_ne_u64_e32 vcc, v[3:4], v[13:14]
	s_and_saveexec_b64 s[24:25], vcc
	s_cbranch_execz .LBB5_425
; %bb.422:                              ;   in Loop: Header=BB5_280 Depth=1
	s_mov_b64 s[28:29], 0
.LBB5_423:                              ;   Parent Loop BB5_280 Depth=1
                                        ; =>  This Inner Loop Header: Depth=2
	s_sleep 1
	global_load_dwordx2 v[7:8], v2, s[34:35] offset:40
	global_load_dwordx2 v[11:12], v2, s[34:35]
	v_mov_b32_e32 v14, v4
	v_mov_b32_e32 v13, v3
	s_waitcnt vmcnt(1)
	v_and_b32_e32 v1, v7, v13
	s_waitcnt vmcnt(0)
	v_mad_u64_u32 v[3:4], s[30:31], v1, 24, v[11:12]
	v_and_b32_e32 v7, v8, v14
	v_mov_b32_e32 v1, v4
	v_mad_u64_u32 v[7:8], s[30:31], v7, 24, v[1:2]
	v_mov_b32_e32 v4, v7
	global_load_dwordx2 v[11:12], v[3:4], off glc
	s_waitcnt vmcnt(0)
	global_atomic_cmpswap_x2 v[3:4], v2, v[11:14], s[34:35] offset:24 glc
	s_waitcnt vmcnt(0)
	buffer_wbinvl1_vol
	v_cmp_eq_u64_e32 vcc, v[3:4], v[13:14]
	s_or_b64 s[28:29], vcc, s[28:29]
	s_andn2_b64 exec, exec, s[28:29]
	s_cbranch_execnz .LBB5_423
; %bb.424:                              ;   in Loop: Header=BB5_280 Depth=1
	s_or_b64 exec, exec, s[28:29]
.LBB5_425:                              ;   in Loop: Header=BB5_280 Depth=1
	s_or_b64 exec, exec, s[24:25]
.LBB5_426:                              ;   in Loop: Header=BB5_280 Depth=1
	s_or_b64 exec, exec, s[22:23]
	global_load_dwordx2 v[7:8], v2, s[34:35] offset:40
	global_load_dwordx4 v[13:16], v2, s[34:35]
	v_readfirstlane_b32 s23, v4
	v_readfirstlane_b32 s22, v3
	s_mov_b64 s[24:25], exec
	s_waitcnt vmcnt(1)
	v_readfirstlane_b32 s28, v7
	v_readfirstlane_b32 s29, v8
	s_and_b64 s[28:29], s[28:29], s[22:23]
	s_mul_i32 s30, s29, 24
	s_mul_hi_u32 s31, s28, 24
	s_mul_i32 s52, s28, 24
	s_add_i32 s30, s31, s30
	v_mov_b32_e32 v1, s30
	s_waitcnt vmcnt(0)
	v_add_co_u32_e32 v17, vcc, s52, v13
	v_addc_co_u32_e32 v18, vcc, v14, v1, vcc
	s_and_saveexec_b64 s[30:31], s[4:5]
	s_cbranch_execz .LBB5_428
; %bb.427:                              ;   in Loop: Header=BB5_280 Depth=1
	v_mov_b32_e32 v3, s24
	v_mov_b32_e32 v4, s25
	global_store_dwordx4 v[17:18], v[3:6], off offset:8
.LBB5_428:                              ;   in Loop: Header=BB5_280 Depth=1
	s_or_b64 exec, exec, s[30:31]
	s_lshl_b64 s[24:25], s[28:29], 12
	v_mov_b32_e32 v1, s25
	v_add_co_u32_e32 v3, vcc, s24, v15
	v_addc_co_u32_e32 v1, vcc, v16, v1, vcc
	v_and_or_b32 v9, v9, s60, 34
	v_mov_b32_e32 v11, s18
	v_mov_b32_e32 v12, v2
	v_readfirstlane_b32 s24, v3
	v_readfirstlane_b32 s25, v1
	s_nop 4
	global_store_dwordx4 v44, v[9:12], s[24:25]
	v_mov_b32_e32 v7, s8
	v_mov_b32_e32 v8, s9
	;; [unrolled: 1-line block ×4, first 2 shown]
	global_store_dwordx4 v44, v[7:10], s[24:25] offset:16
	global_store_dwordx4 v44, v[7:10], s[24:25] offset:32
	;; [unrolled: 1-line block ×3, first 2 shown]
	s_and_saveexec_b64 s[24:25], s[4:5]
	s_cbranch_execz .LBB5_436
; %bb.429:                              ;   in Loop: Header=BB5_280 Depth=1
	global_load_dwordx2 v[11:12], v2, s[34:35] offset:32 glc
	global_load_dwordx2 v[3:4], v2, s[34:35] offset:40
	v_mov_b32_e32 v9, s22
	v_mov_b32_e32 v10, s23
	s_waitcnt vmcnt(0)
	v_readfirstlane_b32 s28, v3
	v_readfirstlane_b32 s29, v4
	s_and_b64 s[28:29], s[28:29], s[22:23]
	s_mul_i32 s29, s29, 24
	s_mul_hi_u32 s30, s28, 24
	s_mul_i32 s28, s28, 24
	s_add_i32 s29, s30, s29
	v_mov_b32_e32 v1, s29
	v_add_co_u32_e32 v3, vcc, s28, v13
	v_addc_co_u32_e32 v4, vcc, v14, v1, vcc
	global_store_dwordx2 v[3:4], v[11:12], off
	s_waitcnt vmcnt(0)
	global_atomic_cmpswap_x2 v[9:10], v2, v[9:12], s[34:35] offset:32 glc
	s_waitcnt vmcnt(0)
	v_cmp_ne_u64_e32 vcc, v[9:10], v[11:12]
	s_and_saveexec_b64 s[28:29], vcc
	s_cbranch_execz .LBB5_432
; %bb.430:                              ;   in Loop: Header=BB5_280 Depth=1
	s_mov_b64 s[30:31], 0
.LBB5_431:                              ;   Parent Loop BB5_280 Depth=1
                                        ; =>  This Inner Loop Header: Depth=2
	s_sleep 1
	global_store_dwordx2 v[3:4], v[9:10], off
	v_mov_b32_e32 v7, s22
	v_mov_b32_e32 v8, s23
	s_waitcnt vmcnt(0)
	global_atomic_cmpswap_x2 v[7:8], v2, v[7:10], s[34:35] offset:32 glc
	s_waitcnt vmcnt(0)
	v_cmp_eq_u64_e32 vcc, v[7:8], v[9:10]
	v_mov_b32_e32 v10, v8
	s_or_b64 s[30:31], vcc, s[30:31]
	v_mov_b32_e32 v9, v7
	s_andn2_b64 exec, exec, s[30:31]
	s_cbranch_execnz .LBB5_431
.LBB5_432:                              ;   in Loop: Header=BB5_280 Depth=1
	s_or_b64 exec, exec, s[28:29]
	global_load_dwordx2 v[3:4], v2, s[34:35] offset:16
	s_mov_b64 s[30:31], exec
	v_mbcnt_lo_u32_b32 v1, s30, 0
	v_mbcnt_hi_u32_b32 v1, s31, v1
	v_cmp_eq_u32_e32 vcc, 0, v1
	s_and_saveexec_b64 s[28:29], vcc
	s_cbranch_execz .LBB5_434
; %bb.433:                              ;   in Loop: Header=BB5_280 Depth=1
	s_bcnt1_i32_b64 s30, s[30:31]
	v_mov_b32_e32 v1, s30
	s_waitcnt vmcnt(0)
	global_atomic_add_x2 v[3:4], v[1:2], off offset:8
.LBB5_434:                              ;   in Loop: Header=BB5_280 Depth=1
	s_or_b64 exec, exec, s[28:29]
	s_waitcnt vmcnt(0)
	global_load_dwordx2 v[7:8], v[3:4], off offset:16
	s_waitcnt vmcnt(0)
	v_cmp_eq_u64_e32 vcc, 0, v[7:8]
	s_cbranch_vccnz .LBB5_436
; %bb.435:                              ;   in Loop: Header=BB5_280 Depth=1
	global_load_dword v1, v[3:4], off offset:24
	s_waitcnt vmcnt(0)
	v_readfirstlane_b32 s28, v1
	s_and_b32 m0, s28, 0xffffff
	global_store_dwordx2 v[7:8], v[1:2], off
	s_sendmsg sendmsg(MSG_INTERRUPT)
.LBB5_436:                              ;   in Loop: Header=BB5_280 Depth=1
	s_or_b64 exec, exec, s[24:25]
	s_branch .LBB5_440
.LBB5_437:                              ;   in Loop: Header=BB5_440 Depth=2
	s_or_b64 exec, exec, s[24:25]
	v_readfirstlane_b32 s24, v1
	s_cmp_eq_u32 s24, 0
	s_cbranch_scc1 .LBB5_439
; %bb.438:                              ;   in Loop: Header=BB5_440 Depth=2
	s_sleep 1
	s_cbranch_execnz .LBB5_440
	s_branch .LBB5_442
.LBB5_439:                              ;   in Loop: Header=BB5_280 Depth=1
	s_branch .LBB5_442
.LBB5_440:                              ;   Parent Loop BB5_280 Depth=1
                                        ; =>  This Inner Loop Header: Depth=2
	v_mov_b32_e32 v1, 1
	s_and_saveexec_b64 s[24:25], s[4:5]
	s_cbranch_execz .LBB5_437
; %bb.441:                              ;   in Loop: Header=BB5_440 Depth=2
	global_load_dword v1, v[17:18], off offset:20 glc
	s_waitcnt vmcnt(0)
	buffer_wbinvl1_vol
	v_and_b32_e32 v1, 1, v1
	s_branch .LBB5_437
.LBB5_442:                              ;   in Loop: Header=BB5_280 Depth=1
	s_and_saveexec_b64 s[24:25], s[4:5]
	s_cbranch_execz .LBB5_446
; %bb.443:                              ;   in Loop: Header=BB5_280 Depth=1
	global_load_dwordx2 v[3:4], v2, s[34:35] offset:40
	global_load_dwordx2 v[11:12], v2, s[34:35] offset:24 glc
	global_load_dwordx2 v[7:8], v2, s[34:35]
	s_waitcnt vmcnt(2)
	v_readfirstlane_b32 s28, v3
	v_readfirstlane_b32 s29, v4
	s_add_u32 s30, s28, 1
	s_addc_u32 s31, s29, 0
	s_add_u32 s4, s30, s22
	s_addc_u32 s5, s31, s23
	s_cmp_eq_u64 s[4:5], 0
	s_cselect_b32 s5, s31, s5
	s_cselect_b32 s4, s30, s4
	s_and_b64 s[22:23], s[4:5], s[28:29]
	s_mul_i32 s23, s23, 24
	s_mul_hi_u32 s28, s22, 24
	s_mul_i32 s22, s22, 24
	s_add_i32 s23, s28, s23
	v_mov_b32_e32 v1, s23
	s_waitcnt vmcnt(0)
	v_add_co_u32_e32 v3, vcc, s22, v7
	v_addc_co_u32_e32 v4, vcc, v8, v1, vcc
	v_mov_b32_e32 v9, s4
	global_store_dwordx2 v[3:4], v[11:12], off
	v_mov_b32_e32 v10, s5
	s_waitcnt vmcnt(0)
	global_atomic_cmpswap_x2 v[9:10], v2, v[9:12], s[34:35] offset:24 glc
	s_waitcnt vmcnt(0)
	v_cmp_ne_u64_e32 vcc, v[9:10], v[11:12]
	s_and_b64 exec, exec, vcc
	s_cbranch_execz .LBB5_446
; %bb.444:                              ;   in Loop: Header=BB5_280 Depth=1
	s_mov_b64 s[22:23], 0
.LBB5_445:                              ;   Parent Loop BB5_280 Depth=1
                                        ; =>  This Inner Loop Header: Depth=2
	s_sleep 1
	global_store_dwordx2 v[3:4], v[9:10], off
	v_mov_b32_e32 v7, s4
	v_mov_b32_e32 v8, s5
	s_waitcnt vmcnt(0)
	global_atomic_cmpswap_x2 v[7:8], v2, v[7:10], s[34:35] offset:24 glc
	s_waitcnt vmcnt(0)
	v_cmp_eq_u64_e32 vcc, v[7:8], v[9:10]
	v_mov_b32_e32 v10, v8
	s_or_b64 s[22:23], vcc, s[22:23]
	v_mov_b32_e32 v9, v7
	s_andn2_b64 exec, exec, s[22:23]
	s_cbranch_execnz .LBB5_445
.LBB5_446:                              ;   in Loop: Header=BB5_280 Depth=1
	s_or_b64 exec, exec, s[24:25]
	s_lshl_b64 s[22:23], s[18:19], 2
	s_add_u32 s4, s44, s22
	s_addc_u32 s5, s45, s23
	global_load_dword v1, v2, s[4:5]
	s_waitcnt vmcnt(0)
	v_cmp_eq_u32_e32 vcc, -1, v1
	v_readfirstlane_b32 s61, v1
	s_cbranch_vccnz .LBB5_559
; %bb.447:                              ;   in Loop: Header=BB5_280 Depth=1
	v_readfirstlane_b32 s4, v45
	v_mov_b32_e32 v3, 0
	v_mov_b32_e32 v4, 0
	v_cmp_eq_u32_e64 s[4:5], s4, v45
	s_and_saveexec_b64 s[24:25], s[4:5]
	s_cbranch_execz .LBB5_453
; %bb.448:                              ;   in Loop: Header=BB5_280 Depth=1
	global_load_dwordx2 v[9:10], v2, s[34:35] offset:24 glc
	s_waitcnt vmcnt(0)
	buffer_wbinvl1_vol
	global_load_dwordx2 v[3:4], v2, s[34:35] offset:40
	global_load_dwordx2 v[7:8], v2, s[34:35]
	s_waitcnt vmcnt(1)
	v_and_b32_e32 v1, v3, v9
	v_and_b32_e32 v3, v4, v10
	v_mul_lo_u32 v3, v3, 24
	v_mul_hi_u32 v4, v1, 24
	v_mul_lo_u32 v1, v1, 24
	v_add_u32_e32 v4, v4, v3
	s_waitcnt vmcnt(0)
	v_add_co_u32_e32 v3, vcc, v7, v1
	v_addc_co_u32_e32 v4, vcc, v8, v4, vcc
	global_load_dwordx2 v[7:8], v[3:4], off glc
	s_waitcnt vmcnt(0)
	global_atomic_cmpswap_x2 v[3:4], v2, v[7:10], s[34:35] offset:24 glc
	s_waitcnt vmcnt(0)
	buffer_wbinvl1_vol
	v_cmp_ne_u64_e32 vcc, v[3:4], v[9:10]
	s_and_saveexec_b64 s[28:29], vcc
	s_cbranch_execz .LBB5_452
; %bb.449:                              ;   in Loop: Header=BB5_280 Depth=1
	s_mov_b64 s[30:31], 0
.LBB5_450:                              ;   Parent Loop BB5_280 Depth=1
                                        ; =>  This Inner Loop Header: Depth=2
	s_sleep 1
	global_load_dwordx2 v[7:8], v2, s[34:35] offset:40
	global_load_dwordx2 v[11:12], v2, s[34:35]
	v_mov_b32_e32 v10, v4
	v_mov_b32_e32 v9, v3
	s_waitcnt vmcnt(1)
	v_and_b32_e32 v1, v7, v9
	s_waitcnt vmcnt(0)
	v_mad_u64_u32 v[3:4], s[52:53], v1, 24, v[11:12]
	v_and_b32_e32 v7, v8, v10
	v_mov_b32_e32 v1, v4
	v_mad_u64_u32 v[7:8], s[52:53], v7, 24, v[1:2]
	v_mov_b32_e32 v4, v7
	global_load_dwordx2 v[7:8], v[3:4], off glc
	s_waitcnt vmcnt(0)
	global_atomic_cmpswap_x2 v[3:4], v2, v[7:10], s[34:35] offset:24 glc
	s_waitcnt vmcnt(0)
	buffer_wbinvl1_vol
	v_cmp_eq_u64_e32 vcc, v[3:4], v[9:10]
	s_or_b64 s[30:31], vcc, s[30:31]
	s_andn2_b64 exec, exec, s[30:31]
	s_cbranch_execnz .LBB5_450
; %bb.451:                              ;   in Loop: Header=BB5_280 Depth=1
	s_or_b64 exec, exec, s[30:31]
.LBB5_452:                              ;   in Loop: Header=BB5_280 Depth=1
	s_or_b64 exec, exec, s[28:29]
.LBB5_453:                              ;   in Loop: Header=BB5_280 Depth=1
	s_or_b64 exec, exec, s[24:25]
	global_load_dwordx2 v[11:12], v2, s[34:35] offset:40
	global_load_dwordx4 v[7:10], v2, s[34:35]
	v_readfirstlane_b32 s25, v4
	v_readfirstlane_b32 s24, v3
	s_mov_b64 s[28:29], exec
	s_waitcnt vmcnt(1)
	v_readfirstlane_b32 s30, v11
	v_readfirstlane_b32 s31, v12
	s_and_b64 s[30:31], s[30:31], s[24:25]
	s_mul_i32 s52, s31, 24
	s_mul_hi_u32 s53, s30, 24
	s_mul_i32 s54, s30, 24
	s_add_i32 s52, s53, s52
	v_mov_b32_e32 v1, s52
	s_waitcnt vmcnt(0)
	v_add_co_u32_e32 v11, vcc, s54, v7
	v_addc_co_u32_e32 v12, vcc, v8, v1, vcc
	s_and_saveexec_b64 s[52:53], s[4:5]
	s_cbranch_execz .LBB5_455
; %bb.454:                              ;   in Loop: Header=BB5_280 Depth=1
	v_mov_b32_e32 v3, s28
	v_mov_b32_e32 v4, s29
	global_store_dwordx4 v[11:12], v[3:6], off offset:8
.LBB5_455:                              ;   in Loop: Header=BB5_280 Depth=1
	s_or_b64 exec, exec, s[52:53]
	s_lshl_b64 s[28:29], s[30:31], 12
	v_mov_b32_e32 v1, s29
	v_add_co_u32_e32 v13, vcc, s28, v9
	v_addc_co_u32_e32 v14, vcc, v10, v1, vcc
	v_mov_b32_e32 v18, s11
	v_mov_b32_e32 v1, v2
	;; [unrolled: 1-line block ×3, first 2 shown]
	v_readfirstlane_b32 s28, v13
	v_readfirstlane_b32 s29, v14
	v_mov_b32_e32 v17, s10
	v_mov_b32_e32 v16, s9
	;; [unrolled: 1-line block ×3, first 2 shown]
	s_nop 1
	global_store_dwordx4 v44, v[0:3], s[28:29]
	global_store_dwordx4 v44, v[15:18], s[28:29] offset:16
	global_store_dwordx4 v44, v[15:18], s[28:29] offset:32
	;; [unrolled: 1-line block ×3, first 2 shown]
	s_and_saveexec_b64 s[28:29], s[4:5]
	s_cbranch_execz .LBB5_463
; %bb.456:                              ;   in Loop: Header=BB5_280 Depth=1
	global_load_dwordx2 v[17:18], v2, s[34:35] offset:32 glc
	global_load_dwordx2 v[3:4], v2, s[34:35] offset:40
	v_mov_b32_e32 v15, s24
	v_mov_b32_e32 v16, s25
	s_waitcnt vmcnt(0)
	v_readfirstlane_b32 s30, v3
	v_readfirstlane_b32 s31, v4
	s_and_b64 s[30:31], s[30:31], s[24:25]
	s_mul_i32 s31, s31, 24
	s_mul_hi_u32 s52, s30, 24
	s_mul_i32 s30, s30, 24
	s_add_i32 s31, s52, s31
	v_mov_b32_e32 v1, s31
	v_add_co_u32_e32 v3, vcc, s30, v7
	v_addc_co_u32_e32 v4, vcc, v8, v1, vcc
	global_store_dwordx2 v[3:4], v[17:18], off
	s_waitcnt vmcnt(0)
	global_atomic_cmpswap_x2 v[9:10], v2, v[15:18], s[34:35] offset:32 glc
	s_waitcnt vmcnt(0)
	v_cmp_ne_u64_e32 vcc, v[9:10], v[17:18]
	s_and_saveexec_b64 s[30:31], vcc
	s_cbranch_execz .LBB5_459
; %bb.457:                              ;   in Loop: Header=BB5_280 Depth=1
	s_mov_b64 s[52:53], 0
.LBB5_458:                              ;   Parent Loop BB5_280 Depth=1
                                        ; =>  This Inner Loop Header: Depth=2
	s_sleep 1
	global_store_dwordx2 v[3:4], v[9:10], off
	v_mov_b32_e32 v7, s24
	v_mov_b32_e32 v8, s25
	s_waitcnt vmcnt(0)
	global_atomic_cmpswap_x2 v[7:8], v2, v[7:10], s[34:35] offset:32 glc
	s_waitcnt vmcnt(0)
	v_cmp_eq_u64_e32 vcc, v[7:8], v[9:10]
	v_mov_b32_e32 v10, v8
	s_or_b64 s[52:53], vcc, s[52:53]
	v_mov_b32_e32 v9, v7
	s_andn2_b64 exec, exec, s[52:53]
	s_cbranch_execnz .LBB5_458
.LBB5_459:                              ;   in Loop: Header=BB5_280 Depth=1
	s_or_b64 exec, exec, s[30:31]
	global_load_dwordx2 v[3:4], v2, s[34:35] offset:16
	s_mov_b64 s[52:53], exec
	v_mbcnt_lo_u32_b32 v1, s52, 0
	v_mbcnt_hi_u32_b32 v1, s53, v1
	v_cmp_eq_u32_e32 vcc, 0, v1
	s_and_saveexec_b64 s[30:31], vcc
	s_cbranch_execz .LBB5_461
; %bb.460:                              ;   in Loop: Header=BB5_280 Depth=1
	s_bcnt1_i32_b64 s52, s[52:53]
	v_mov_b32_e32 v1, s52
	s_waitcnt vmcnt(0)
	global_atomic_add_x2 v[3:4], v[1:2], off offset:8
.LBB5_461:                              ;   in Loop: Header=BB5_280 Depth=1
	s_or_b64 exec, exec, s[30:31]
	s_waitcnt vmcnt(0)
	global_load_dwordx2 v[7:8], v[3:4], off offset:16
	s_waitcnt vmcnt(0)
	v_cmp_eq_u64_e32 vcc, 0, v[7:8]
	s_cbranch_vccnz .LBB5_463
; %bb.462:                              ;   in Loop: Header=BB5_280 Depth=1
	global_load_dword v1, v[3:4], off offset:24
	s_waitcnt vmcnt(0)
	v_readfirstlane_b32 s30, v1
	s_and_b32 m0, s30, 0xffffff
	global_store_dwordx2 v[7:8], v[1:2], off
	s_sendmsg sendmsg(MSG_INTERRUPT)
.LBB5_463:                              ;   in Loop: Header=BB5_280 Depth=1
	s_or_b64 exec, exec, s[28:29]
	v_add_co_u32_e32 v3, vcc, v13, v44
	v_addc_co_u32_e32 v4, vcc, 0, v14, vcc
	s_branch .LBB5_467
.LBB5_464:                              ;   in Loop: Header=BB5_467 Depth=2
	s_or_b64 exec, exec, s[28:29]
	v_readfirstlane_b32 s28, v1
	s_cmp_eq_u32 s28, 0
	s_cbranch_scc1 .LBB5_466
; %bb.465:                              ;   in Loop: Header=BB5_467 Depth=2
	s_sleep 1
	s_cbranch_execnz .LBB5_467
	s_branch .LBB5_469
.LBB5_466:                              ;   in Loop: Header=BB5_280 Depth=1
	s_branch .LBB5_469
.LBB5_467:                              ;   Parent Loop BB5_280 Depth=1
                                        ; =>  This Inner Loop Header: Depth=2
	v_mov_b32_e32 v1, 1
	s_and_saveexec_b64 s[28:29], s[4:5]
	s_cbranch_execz .LBB5_464
; %bb.468:                              ;   in Loop: Header=BB5_467 Depth=2
	global_load_dword v1, v[11:12], off offset:20 glc
	s_waitcnt vmcnt(0)
	buffer_wbinvl1_vol
	v_and_b32_e32 v1, 1, v1
	s_branch .LBB5_464
.LBB5_469:                              ;   in Loop: Header=BB5_280 Depth=1
	global_load_dwordx2 v[11:12], v[3:4], off
	s_and_saveexec_b64 s[28:29], s[4:5]
	s_cbranch_execz .LBB5_473
; %bb.470:                              ;   in Loop: Header=BB5_280 Depth=1
	global_load_dwordx2 v[3:4], v2, s[34:35] offset:40
	global_load_dwordx2 v[15:16], v2, s[34:35] offset:24 glc
	global_load_dwordx2 v[7:8], v2, s[34:35]
	s_waitcnt vmcnt(2)
	v_readfirstlane_b32 s30, v3
	v_readfirstlane_b32 s31, v4
	s_add_u32 s52, s30, 1
	s_addc_u32 s53, s31, 0
	s_add_u32 s4, s52, s24
	s_addc_u32 s5, s53, s25
	s_cmp_eq_u64 s[4:5], 0
	s_cselect_b32 s5, s53, s5
	s_cselect_b32 s4, s52, s4
	s_and_b64 s[24:25], s[4:5], s[30:31]
	s_mul_i32 s25, s25, 24
	s_mul_hi_u32 s30, s24, 24
	s_mul_i32 s24, s24, 24
	s_add_i32 s25, s30, s25
	v_mov_b32_e32 v1, s25
	s_waitcnt vmcnt(0)
	v_add_co_u32_e32 v3, vcc, s24, v7
	v_addc_co_u32_e32 v4, vcc, v8, v1, vcc
	v_mov_b32_e32 v13, s4
	global_store_dwordx2 v[3:4], v[15:16], off
	v_mov_b32_e32 v14, s5
	s_waitcnt vmcnt(0)
	global_atomic_cmpswap_x2 v[9:10], v2, v[13:16], s[34:35] offset:24 glc
	s_waitcnt vmcnt(0)
	v_cmp_ne_u64_e32 vcc, v[9:10], v[15:16]
	s_and_b64 exec, exec, vcc
	s_cbranch_execz .LBB5_473
; %bb.471:                              ;   in Loop: Header=BB5_280 Depth=1
	s_mov_b64 s[24:25], 0
.LBB5_472:                              ;   Parent Loop BB5_280 Depth=1
                                        ; =>  This Inner Loop Header: Depth=2
	s_sleep 1
	global_store_dwordx2 v[3:4], v[9:10], off
	v_mov_b32_e32 v7, s4
	v_mov_b32_e32 v8, s5
	s_waitcnt vmcnt(0)
	global_atomic_cmpswap_x2 v[7:8], v2, v[7:10], s[34:35] offset:24 glc
	s_waitcnt vmcnt(0)
	v_cmp_eq_u64_e32 vcc, v[7:8], v[9:10]
	v_mov_b32_e32 v10, v8
	s_or_b64 s[24:25], vcc, s[24:25]
	v_mov_b32_e32 v9, v7
	s_andn2_b64 exec, exec, s[24:25]
	s_cbranch_execnz .LBB5_472
.LBB5_473:                              ;   in Loop: Header=BB5_280 Depth=1
	s_or_b64 exec, exec, s[28:29]
	s_and_b64 vcc, exec, s[12:13]
	s_cbranch_vccz .LBB5_560
; %bb.474:                              ;   in Loop: Header=BB5_280 Depth=1
	s_waitcnt vmcnt(0)
	v_and_b32_e32 v31, 2, v11
	v_and_b32_e32 v7, -3, v11
	v_mov_b32_e32 v8, v12
	s_mov_b64 s[28:29], 6
	s_getpc_b64 s[24:25]
	s_add_u32 s24, s24, .str.3@rel32@lo+4
	s_addc_u32 s25, s25, .str.3@rel32@hi+12
	s_branch .LBB5_476
.LBB5_475:                              ;   in Loop: Header=BB5_476 Depth=2
	s_or_b64 exec, exec, s[54:55]
	s_sub_u32 s28, s28, s30
	s_subb_u32 s29, s29, s31
	s_add_u32 s24, s24, s30
	s_addc_u32 s25, s25, s31
	s_cmp_lg_u64 s[28:29], 0
	s_cbranch_scc0 .LBB5_558
.LBB5_476:                              ;   Parent Loop BB5_280 Depth=1
                                        ; =>  This Loop Header: Depth=2
                                        ;       Child Loop BB5_479 Depth 3
                                        ;       Child Loop BB5_487 Depth 3
                                        ;       Child Loop BB5_495 Depth 3
                                        ;       Child Loop BB5_503 Depth 3
                                        ;       Child Loop BB5_511 Depth 3
                                        ;       Child Loop BB5_519 Depth 3
                                        ;       Child Loop BB5_527 Depth 3
                                        ;       Child Loop BB5_535 Depth 3
                                        ;       Child Loop BB5_543 Depth 3
                                        ;       Child Loop BB5_552 Depth 3
                                        ;       Child Loop BB5_557 Depth 3
	v_cmp_lt_u64_e64 s[4:5], s[28:29], 56
	v_cmp_gt_u64_e64 s[52:53], s[28:29], 7
	s_and_b64 s[4:5], s[4:5], exec
	s_cselect_b32 s31, s29, 0
	s_cselect_b32 s30, s28, 56
	s_add_u32 s4, s24, 8
	s_addc_u32 s5, s25, 0
	s_and_b64 vcc, exec, s[52:53]
	s_cbranch_vccnz .LBB5_480
; %bb.477:                              ;   in Loop: Header=BB5_476 Depth=2
	s_cmp_eq_u64 s[28:29], 0
	s_cbranch_scc1 .LBB5_481
; %bb.478:                              ;   in Loop: Header=BB5_476 Depth=2
	v_mov_b32_e32 v9, 0
	s_lshl_b64 s[4:5], s[30:31], 3
	s_mov_b64 s[52:53], 0
	v_mov_b32_e32 v10, 0
	s_mov_b64 s[54:55], s[24:25]
.LBB5_479:                              ;   Parent Loop BB5_280 Depth=1
                                        ;     Parent Loop BB5_476 Depth=2
                                        ; =>    This Inner Loop Header: Depth=3
	global_load_ubyte v1, v2, s[54:55]
	s_waitcnt vmcnt(0)
	v_and_b32_e32 v1, 0xffff, v1
	v_lshlrev_b64 v[3:4], s52, v[1:2]
	s_add_u32 s52, s52, 8
	s_addc_u32 s53, s53, 0
	s_add_u32 s54, s54, 1
	s_addc_u32 s55, s55, 0
	v_or_b32_e32 v9, v3, v9
	s_cmp_lg_u32 s4, s52
	v_or_b32_e32 v10, v4, v10
	s_cbranch_scc1 .LBB5_479
	s_branch .LBB5_482
.LBB5_480:                              ;   in Loop: Header=BB5_476 Depth=2
	s_mov_b32 s56, 0
	s_branch .LBB5_483
.LBB5_481:                              ;   in Loop: Header=BB5_476 Depth=2
	v_mov_b32_e32 v9, 0
	v_mov_b32_e32 v10, 0
.LBB5_482:                              ;   in Loop: Header=BB5_476 Depth=2
	s_mov_b64 s[4:5], s[24:25]
	s_mov_b32 s56, 0
	s_cbranch_execnz .LBB5_484
.LBB5_483:                              ;   in Loop: Header=BB5_476 Depth=2
	global_load_dwordx2 v[9:10], v2, s[24:25]
	s_add_i32 s56, s30, -8
.LBB5_484:                              ;   in Loop: Header=BB5_476 Depth=2
	s_add_u32 s52, s4, 8
	s_addc_u32 s53, s5, 0
	s_cmp_gt_u32 s56, 7
	s_cbranch_scc1 .LBB5_488
; %bb.485:                              ;   in Loop: Header=BB5_476 Depth=2
	s_cmp_eq_u32 s56, 0
	s_cbranch_scc1 .LBB5_489
; %bb.486:                              ;   in Loop: Header=BB5_476 Depth=2
	v_mov_b32_e32 v13, 0
	s_mov_b64 s[52:53], 0
	v_mov_b32_e32 v14, 0
	s_mov_b64 s[54:55], 0
.LBB5_487:                              ;   Parent Loop BB5_280 Depth=1
                                        ;     Parent Loop BB5_476 Depth=2
                                        ; =>    This Inner Loop Header: Depth=3
	s_add_u32 s58, s4, s54
	s_addc_u32 s59, s5, s55
	global_load_ubyte v1, v2, s[58:59]
	s_add_u32 s54, s54, 1
	s_addc_u32 s55, s55, 0
	s_waitcnt vmcnt(0)
	v_and_b32_e32 v1, 0xffff, v1
	v_lshlrev_b64 v[3:4], s52, v[1:2]
	s_add_u32 s52, s52, 8
	s_addc_u32 s53, s53, 0
	v_or_b32_e32 v13, v3, v13
	s_cmp_lg_u32 s56, s54
	v_or_b32_e32 v14, v4, v14
	s_cbranch_scc1 .LBB5_487
	s_branch .LBB5_490
.LBB5_488:                              ;   in Loop: Header=BB5_476 Depth=2
                                        ; implicit-def: $vgpr13_vgpr14
	s_mov_b32 s57, 0
	s_branch .LBB5_491
.LBB5_489:                              ;   in Loop: Header=BB5_476 Depth=2
	v_mov_b32_e32 v13, 0
	v_mov_b32_e32 v14, 0
.LBB5_490:                              ;   in Loop: Header=BB5_476 Depth=2
	s_mov_b64 s[52:53], s[4:5]
	s_mov_b32 s57, 0
	s_cbranch_execnz .LBB5_492
.LBB5_491:                              ;   in Loop: Header=BB5_476 Depth=2
	global_load_dwordx2 v[13:14], v2, s[4:5]
	s_add_i32 s57, s56, -8
.LBB5_492:                              ;   in Loop: Header=BB5_476 Depth=2
	s_add_u32 s4, s52, 8
	s_addc_u32 s5, s53, 0
	s_cmp_gt_u32 s57, 7
	s_cbranch_scc1 .LBB5_496
; %bb.493:                              ;   in Loop: Header=BB5_476 Depth=2
	s_cmp_eq_u32 s57, 0
	s_cbranch_scc1 .LBB5_497
; %bb.494:                              ;   in Loop: Header=BB5_476 Depth=2
	v_mov_b32_e32 v15, 0
	s_mov_b64 s[4:5], 0
	v_mov_b32_e32 v16, 0
	s_mov_b64 s[54:55], 0
.LBB5_495:                              ;   Parent Loop BB5_280 Depth=1
                                        ;     Parent Loop BB5_476 Depth=2
                                        ; =>    This Inner Loop Header: Depth=3
	s_add_u32 s58, s52, s54
	s_addc_u32 s59, s53, s55
	global_load_ubyte v1, v2, s[58:59]
	s_add_u32 s54, s54, 1
	s_addc_u32 s55, s55, 0
	s_waitcnt vmcnt(0)
	v_and_b32_e32 v1, 0xffff, v1
	v_lshlrev_b64 v[3:4], s4, v[1:2]
	s_add_u32 s4, s4, 8
	s_addc_u32 s5, s5, 0
	v_or_b32_e32 v15, v3, v15
	s_cmp_lg_u32 s57, s54
	v_or_b32_e32 v16, v4, v16
	s_cbranch_scc1 .LBB5_495
	s_branch .LBB5_498
.LBB5_496:                              ;   in Loop: Header=BB5_476 Depth=2
	s_mov_b32 s56, 0
	s_branch .LBB5_499
.LBB5_497:                              ;   in Loop: Header=BB5_476 Depth=2
	v_mov_b32_e32 v15, 0
	v_mov_b32_e32 v16, 0
.LBB5_498:                              ;   in Loop: Header=BB5_476 Depth=2
	s_mov_b64 s[4:5], s[52:53]
	s_mov_b32 s56, 0
	s_cbranch_execnz .LBB5_500
.LBB5_499:                              ;   in Loop: Header=BB5_476 Depth=2
	global_load_dwordx2 v[15:16], v2, s[52:53]
	s_add_i32 s56, s57, -8
.LBB5_500:                              ;   in Loop: Header=BB5_476 Depth=2
	s_add_u32 s52, s4, 8
	s_addc_u32 s53, s5, 0
	s_cmp_gt_u32 s56, 7
	s_cbranch_scc1 .LBB5_504
; %bb.501:                              ;   in Loop: Header=BB5_476 Depth=2
	s_cmp_eq_u32 s56, 0
	s_cbranch_scc1 .LBB5_505
; %bb.502:                              ;   in Loop: Header=BB5_476 Depth=2
	v_mov_b32_e32 v17, 0
	s_mov_b64 s[52:53], 0
	v_mov_b32_e32 v18, 0
	s_mov_b64 s[54:55], 0
.LBB5_503:                              ;   Parent Loop BB5_280 Depth=1
                                        ;     Parent Loop BB5_476 Depth=2
                                        ; =>    This Inner Loop Header: Depth=3
	s_add_u32 s58, s4, s54
	s_addc_u32 s59, s5, s55
	global_load_ubyte v1, v2, s[58:59]
	s_add_u32 s54, s54, 1
	s_addc_u32 s55, s55, 0
	s_waitcnt vmcnt(0)
	v_and_b32_e32 v1, 0xffff, v1
	v_lshlrev_b64 v[3:4], s52, v[1:2]
	s_add_u32 s52, s52, 8
	s_addc_u32 s53, s53, 0
	v_or_b32_e32 v17, v3, v17
	s_cmp_lg_u32 s56, s54
	v_or_b32_e32 v18, v4, v18
	s_cbranch_scc1 .LBB5_503
	s_branch .LBB5_506
.LBB5_504:                              ;   in Loop: Header=BB5_476 Depth=2
                                        ; implicit-def: $vgpr17_vgpr18
	s_mov_b32 s57, 0
	s_branch .LBB5_507
.LBB5_505:                              ;   in Loop: Header=BB5_476 Depth=2
	v_mov_b32_e32 v17, 0
	v_mov_b32_e32 v18, 0
.LBB5_506:                              ;   in Loop: Header=BB5_476 Depth=2
	s_mov_b64 s[52:53], s[4:5]
	s_mov_b32 s57, 0
	s_cbranch_execnz .LBB5_508
.LBB5_507:                              ;   in Loop: Header=BB5_476 Depth=2
	global_load_dwordx2 v[17:18], v2, s[4:5]
	s_add_i32 s57, s56, -8
.LBB5_508:                              ;   in Loop: Header=BB5_476 Depth=2
	s_add_u32 s4, s52, 8
	s_addc_u32 s5, s53, 0
	s_cmp_gt_u32 s57, 7
	s_cbranch_scc1 .LBB5_512
; %bb.509:                              ;   in Loop: Header=BB5_476 Depth=2
	s_cmp_eq_u32 s57, 0
	s_cbranch_scc1 .LBB5_513
; %bb.510:                              ;   in Loop: Header=BB5_476 Depth=2
	v_mov_b32_e32 v19, 0
	s_mov_b64 s[4:5], 0
	v_mov_b32_e32 v20, 0
	s_mov_b64 s[54:55], 0
.LBB5_511:                              ;   Parent Loop BB5_280 Depth=1
                                        ;     Parent Loop BB5_476 Depth=2
                                        ; =>    This Inner Loop Header: Depth=3
	s_add_u32 s58, s52, s54
	s_addc_u32 s59, s53, s55
	global_load_ubyte v1, v2, s[58:59]
	s_add_u32 s54, s54, 1
	s_addc_u32 s55, s55, 0
	s_waitcnt vmcnt(0)
	v_and_b32_e32 v1, 0xffff, v1
	v_lshlrev_b64 v[3:4], s4, v[1:2]
	s_add_u32 s4, s4, 8
	s_addc_u32 s5, s5, 0
	v_or_b32_e32 v19, v3, v19
	s_cmp_lg_u32 s57, s54
	v_or_b32_e32 v20, v4, v20
	s_cbranch_scc1 .LBB5_511
	s_branch .LBB5_514
.LBB5_512:                              ;   in Loop: Header=BB5_476 Depth=2
	s_mov_b32 s56, 0
	s_branch .LBB5_515
.LBB5_513:                              ;   in Loop: Header=BB5_476 Depth=2
	v_mov_b32_e32 v19, 0
	v_mov_b32_e32 v20, 0
.LBB5_514:                              ;   in Loop: Header=BB5_476 Depth=2
	s_mov_b64 s[4:5], s[52:53]
	s_mov_b32 s56, 0
	s_cbranch_execnz .LBB5_516
.LBB5_515:                              ;   in Loop: Header=BB5_476 Depth=2
	global_load_dwordx2 v[19:20], v2, s[52:53]
	s_add_i32 s56, s57, -8
.LBB5_516:                              ;   in Loop: Header=BB5_476 Depth=2
	s_add_u32 s52, s4, 8
	s_addc_u32 s53, s5, 0
	s_cmp_gt_u32 s56, 7
	s_cbranch_scc1 .LBB5_520
; %bb.517:                              ;   in Loop: Header=BB5_476 Depth=2
	s_cmp_eq_u32 s56, 0
	s_cbranch_scc1 .LBB5_521
; %bb.518:                              ;   in Loop: Header=BB5_476 Depth=2
	v_mov_b32_e32 v21, 0
	s_mov_b64 s[52:53], 0
	v_mov_b32_e32 v22, 0
	s_mov_b64 s[54:55], 0
.LBB5_519:                              ;   Parent Loop BB5_280 Depth=1
                                        ;     Parent Loop BB5_476 Depth=2
                                        ; =>    This Inner Loop Header: Depth=3
	s_add_u32 s58, s4, s54
	s_addc_u32 s59, s5, s55
	global_load_ubyte v1, v2, s[58:59]
	s_add_u32 s54, s54, 1
	s_addc_u32 s55, s55, 0
	s_waitcnt vmcnt(0)
	v_and_b32_e32 v1, 0xffff, v1
	v_lshlrev_b64 v[3:4], s52, v[1:2]
	s_add_u32 s52, s52, 8
	s_addc_u32 s53, s53, 0
	v_or_b32_e32 v21, v3, v21
	s_cmp_lg_u32 s56, s54
	v_or_b32_e32 v22, v4, v22
	s_cbranch_scc1 .LBB5_519
	s_branch .LBB5_522
.LBB5_520:                              ;   in Loop: Header=BB5_476 Depth=2
                                        ; implicit-def: $vgpr21_vgpr22
	s_mov_b32 s57, 0
	s_branch .LBB5_523
.LBB5_521:                              ;   in Loop: Header=BB5_476 Depth=2
	v_mov_b32_e32 v21, 0
	v_mov_b32_e32 v22, 0
.LBB5_522:                              ;   in Loop: Header=BB5_476 Depth=2
	s_mov_b64 s[52:53], s[4:5]
	s_mov_b32 s57, 0
	s_cbranch_execnz .LBB5_524
.LBB5_523:                              ;   in Loop: Header=BB5_476 Depth=2
	global_load_dwordx2 v[21:22], v2, s[4:5]
	s_add_i32 s57, s56, -8
.LBB5_524:                              ;   in Loop: Header=BB5_476 Depth=2
	s_cmp_gt_u32 s57, 7
	s_cbranch_scc1 .LBB5_528
; %bb.525:                              ;   in Loop: Header=BB5_476 Depth=2
	s_cmp_eq_u32 s57, 0
	s_cbranch_scc1 .LBB5_529
; %bb.526:                              ;   in Loop: Header=BB5_476 Depth=2
	v_mov_b32_e32 v23, 0
	s_mov_b64 s[4:5], 0
	v_mov_b32_e32 v24, 0
	s_mov_b64 s[54:55], s[52:53]
.LBB5_527:                              ;   Parent Loop BB5_280 Depth=1
                                        ;     Parent Loop BB5_476 Depth=2
                                        ; =>    This Inner Loop Header: Depth=3
	global_load_ubyte v1, v2, s[54:55]
	s_add_i32 s57, s57, -1
	s_waitcnt vmcnt(0)
	v_and_b32_e32 v1, 0xffff, v1
	v_lshlrev_b64 v[3:4], s4, v[1:2]
	s_add_u32 s4, s4, 8
	s_addc_u32 s5, s5, 0
	s_add_u32 s54, s54, 1
	s_addc_u32 s55, s55, 0
	v_or_b32_e32 v23, v3, v23
	s_cmp_lg_u32 s57, 0
	v_or_b32_e32 v24, v4, v24
	s_cbranch_scc1 .LBB5_527
	s_branch .LBB5_530
.LBB5_528:                              ;   in Loop: Header=BB5_476 Depth=2
	s_branch .LBB5_531
.LBB5_529:                              ;   in Loop: Header=BB5_476 Depth=2
	v_mov_b32_e32 v23, 0
	v_mov_b32_e32 v24, 0
.LBB5_530:                              ;   in Loop: Header=BB5_476 Depth=2
	s_cbranch_execnz .LBB5_532
.LBB5_531:                              ;   in Loop: Header=BB5_476 Depth=2
	global_load_dwordx2 v[23:24], v2, s[52:53]
.LBB5_532:                              ;   in Loop: Header=BB5_476 Depth=2
	v_readfirstlane_b32 s4, v45
	v_mov_b32_e32 v3, 0
	v_mov_b32_e32 v4, 0
	v_cmp_eq_u32_e64 s[4:5], s4, v45
	s_and_saveexec_b64 s[52:53], s[4:5]
	s_cbranch_execz .LBB5_538
; %bb.533:                              ;   in Loop: Header=BB5_476 Depth=2
	global_load_dwordx2 v[27:28], v2, s[34:35] offset:24 glc
	s_waitcnt vmcnt(0)
	buffer_wbinvl1_vol
	global_load_dwordx2 v[3:4], v2, s[34:35] offset:40
	global_load_dwordx2 v[25:26], v2, s[34:35]
	s_waitcnt vmcnt(1)
	v_and_b32_e32 v1, v3, v27
	v_and_b32_e32 v3, v4, v28
	v_mul_lo_u32 v3, v3, 24
	v_mul_hi_u32 v4, v1, 24
	v_mul_lo_u32 v1, v1, 24
	v_add_u32_e32 v4, v4, v3
	s_waitcnt vmcnt(0)
	v_add_co_u32_e32 v3, vcc, v25, v1
	v_addc_co_u32_e32 v4, vcc, v26, v4, vcc
	global_load_dwordx2 v[25:26], v[3:4], off glc
	s_waitcnt vmcnt(0)
	global_atomic_cmpswap_x2 v[3:4], v2, v[25:28], s[34:35] offset:24 glc
	s_waitcnt vmcnt(0)
	buffer_wbinvl1_vol
	v_cmp_ne_u64_e32 vcc, v[3:4], v[27:28]
	s_and_saveexec_b64 s[54:55], vcc
	s_cbranch_execz .LBB5_537
; %bb.534:                              ;   in Loop: Header=BB5_476 Depth=2
	s_mov_b64 s[56:57], 0
.LBB5_535:                              ;   Parent Loop BB5_280 Depth=1
                                        ;     Parent Loop BB5_476 Depth=2
                                        ; =>    This Inner Loop Header: Depth=3
	s_sleep 1
	global_load_dwordx2 v[25:26], v2, s[34:35] offset:40
	global_load_dwordx2 v[29:30], v2, s[34:35]
	v_mov_b32_e32 v28, v4
	v_mov_b32_e32 v27, v3
	s_waitcnt vmcnt(1)
	v_and_b32_e32 v1, v25, v27
	s_waitcnt vmcnt(0)
	v_mad_u64_u32 v[3:4], s[58:59], v1, 24, v[29:30]
	v_and_b32_e32 v25, v26, v28
	v_mov_b32_e32 v1, v4
	v_mad_u64_u32 v[25:26], s[58:59], v25, 24, v[1:2]
	v_mov_b32_e32 v4, v25
	global_load_dwordx2 v[25:26], v[3:4], off glc
	s_waitcnt vmcnt(0)
	global_atomic_cmpswap_x2 v[3:4], v2, v[25:28], s[34:35] offset:24 glc
	s_waitcnt vmcnt(0)
	buffer_wbinvl1_vol
	v_cmp_eq_u64_e32 vcc, v[3:4], v[27:28]
	s_or_b64 s[56:57], vcc, s[56:57]
	s_andn2_b64 exec, exec, s[56:57]
	s_cbranch_execnz .LBB5_535
; %bb.536:                              ;   in Loop: Header=BB5_476 Depth=2
	s_or_b64 exec, exec, s[56:57]
.LBB5_537:                              ;   in Loop: Header=BB5_476 Depth=2
	s_or_b64 exec, exec, s[54:55]
.LBB5_538:                              ;   in Loop: Header=BB5_476 Depth=2
	s_or_b64 exec, exec, s[52:53]
	global_load_dwordx2 v[29:30], v2, s[34:35] offset:40
	global_load_dwordx4 v[25:28], v2, s[34:35]
	v_readfirstlane_b32 s53, v4
	v_readfirstlane_b32 s52, v3
	s_mov_b64 s[54:55], exec
	s_waitcnt vmcnt(1)
	v_readfirstlane_b32 s56, v29
	v_readfirstlane_b32 s57, v30
	s_and_b64 s[56:57], s[56:57], s[52:53]
	s_mul_i32 s58, s57, 24
	s_mul_hi_u32 s59, s56, 24
	s_mul_i32 s62, s56, 24
	s_add_i32 s58, s59, s58
	v_mov_b32_e32 v1, s58
	s_waitcnt vmcnt(0)
	v_add_co_u32_e32 v29, vcc, s62, v25
	v_addc_co_u32_e32 v30, vcc, v26, v1, vcc
	s_and_saveexec_b64 s[58:59], s[4:5]
	s_cbranch_execz .LBB5_540
; %bb.539:                              ;   in Loop: Header=BB5_476 Depth=2
	v_mov_b32_e32 v3, s54
	v_mov_b32_e32 v4, s55
	global_store_dwordx4 v[29:30], v[3:6], off offset:8
.LBB5_540:                              ;   in Loop: Header=BB5_476 Depth=2
	s_or_b64 exec, exec, s[58:59]
	s_lshl_b64 s[54:55], s[56:57], 12
	v_mov_b32_e32 v1, s55
	v_add_co_u32_e32 v27, vcc, s54, v27
	v_addc_co_u32_e32 v28, vcc, v28, v1, vcc
	v_cmp_lt_u64_e64 vcc, s[28:29], 57
	s_lshl_b32 s54, s30, 2
	v_cndmask_b32_e32 v1, 0, v31, vcc
	s_add_i32 s54, s54, 28
	v_and_b32_e32 v3, 0xffffff1f, v7
	s_and_b32 s54, s54, 0x1e0
	v_or_b32_e32 v1, v3, v1
	v_or_b32_e32 v7, s54, v1
	v_readfirstlane_b32 s54, v27
	v_readfirstlane_b32 s55, v28
	s_nop 4
	global_store_dwordx4 v44, v[7:10], s[54:55]
	global_store_dwordx4 v44, v[13:16], s[54:55] offset:16
	global_store_dwordx4 v44, v[17:20], s[54:55] offset:32
	;; [unrolled: 1-line block ×3, first 2 shown]
	s_and_saveexec_b64 s[54:55], s[4:5]
	s_cbranch_execz .LBB5_548
; %bb.541:                              ;   in Loop: Header=BB5_476 Depth=2
	global_load_dwordx2 v[15:16], v2, s[34:35] offset:32 glc
	global_load_dwordx2 v[3:4], v2, s[34:35] offset:40
	v_mov_b32_e32 v13, s52
	v_mov_b32_e32 v14, s53
	s_waitcnt vmcnt(0)
	v_readfirstlane_b32 s56, v3
	v_readfirstlane_b32 s57, v4
	s_and_b64 s[56:57], s[56:57], s[52:53]
	s_mul_i32 s57, s57, 24
	s_mul_hi_u32 s58, s56, 24
	s_mul_i32 s56, s56, 24
	s_add_i32 s57, s58, s57
	v_mov_b32_e32 v1, s57
	v_add_co_u32_e32 v3, vcc, s56, v25
	v_addc_co_u32_e32 v4, vcc, v26, v1, vcc
	global_store_dwordx2 v[3:4], v[15:16], off
	s_waitcnt vmcnt(0)
	global_atomic_cmpswap_x2 v[9:10], v2, v[13:16], s[34:35] offset:32 glc
	s_waitcnt vmcnt(0)
	v_cmp_ne_u64_e32 vcc, v[9:10], v[15:16]
	s_and_saveexec_b64 s[56:57], vcc
	s_cbranch_execz .LBB5_544
; %bb.542:                              ;   in Loop: Header=BB5_476 Depth=2
	s_mov_b64 s[58:59], 0
.LBB5_543:                              ;   Parent Loop BB5_280 Depth=1
                                        ;     Parent Loop BB5_476 Depth=2
                                        ; =>    This Inner Loop Header: Depth=3
	s_sleep 1
	global_store_dwordx2 v[3:4], v[9:10], off
	v_mov_b32_e32 v7, s52
	v_mov_b32_e32 v8, s53
	s_waitcnt vmcnt(0)
	global_atomic_cmpswap_x2 v[7:8], v2, v[7:10], s[34:35] offset:32 glc
	s_waitcnt vmcnt(0)
	v_cmp_eq_u64_e32 vcc, v[7:8], v[9:10]
	v_mov_b32_e32 v10, v8
	s_or_b64 s[58:59], vcc, s[58:59]
	v_mov_b32_e32 v9, v7
	s_andn2_b64 exec, exec, s[58:59]
	s_cbranch_execnz .LBB5_543
.LBB5_544:                              ;   in Loop: Header=BB5_476 Depth=2
	s_or_b64 exec, exec, s[56:57]
	global_load_dwordx2 v[3:4], v2, s[34:35] offset:16
	s_mov_b64 s[58:59], exec
	v_mbcnt_lo_u32_b32 v1, s58, 0
	v_mbcnt_hi_u32_b32 v1, s59, v1
	v_cmp_eq_u32_e32 vcc, 0, v1
	s_and_saveexec_b64 s[56:57], vcc
	s_cbranch_execz .LBB5_546
; %bb.545:                              ;   in Loop: Header=BB5_476 Depth=2
	s_bcnt1_i32_b64 s58, s[58:59]
	v_mov_b32_e32 v1, s58
	s_waitcnt vmcnt(0)
	global_atomic_add_x2 v[3:4], v[1:2], off offset:8
.LBB5_546:                              ;   in Loop: Header=BB5_476 Depth=2
	s_or_b64 exec, exec, s[56:57]
	s_waitcnt vmcnt(0)
	global_load_dwordx2 v[7:8], v[3:4], off offset:16
	s_waitcnt vmcnt(0)
	v_cmp_eq_u64_e32 vcc, 0, v[7:8]
	s_cbranch_vccnz .LBB5_548
; %bb.547:                              ;   in Loop: Header=BB5_476 Depth=2
	global_load_dword v1, v[3:4], off offset:24
	s_waitcnt vmcnt(0)
	v_readfirstlane_b32 s56, v1
	s_and_b32 m0, s56, 0xffffff
	global_store_dwordx2 v[7:8], v[1:2], off
	s_sendmsg sendmsg(MSG_INTERRUPT)
.LBB5_548:                              ;   in Loop: Header=BB5_476 Depth=2
	s_or_b64 exec, exec, s[54:55]
	v_add_co_u32_e32 v3, vcc, v27, v44
	v_addc_co_u32_e32 v4, vcc, 0, v28, vcc
	s_branch .LBB5_552
.LBB5_549:                              ;   in Loop: Header=BB5_552 Depth=3
	s_or_b64 exec, exec, s[54:55]
	v_readfirstlane_b32 s54, v1
	s_cmp_eq_u32 s54, 0
	s_cbranch_scc1 .LBB5_551
; %bb.550:                              ;   in Loop: Header=BB5_552 Depth=3
	s_sleep 1
	s_cbranch_execnz .LBB5_552
	s_branch .LBB5_554
.LBB5_551:                              ;   in Loop: Header=BB5_476 Depth=2
	s_branch .LBB5_554
.LBB5_552:                              ;   Parent Loop BB5_280 Depth=1
                                        ;     Parent Loop BB5_476 Depth=2
                                        ; =>    This Inner Loop Header: Depth=3
	v_mov_b32_e32 v1, 1
	s_and_saveexec_b64 s[54:55], s[4:5]
	s_cbranch_execz .LBB5_549
; %bb.553:                              ;   in Loop: Header=BB5_552 Depth=3
	global_load_dword v1, v[29:30], off offset:20 glc
	s_waitcnt vmcnt(0)
	buffer_wbinvl1_vol
	v_and_b32_e32 v1, 1, v1
	s_branch .LBB5_549
.LBB5_554:                              ;   in Loop: Header=BB5_476 Depth=2
	global_load_dwordx2 v[7:8], v[3:4], off
	s_and_saveexec_b64 s[54:55], s[4:5]
	s_cbranch_execz .LBB5_475
; %bb.555:                              ;   in Loop: Header=BB5_476 Depth=2
	global_load_dwordx2 v[3:4], v2, s[34:35] offset:40
	global_load_dwordx2 v[17:18], v2, s[34:35] offset:24 glc
	global_load_dwordx2 v[9:10], v2, s[34:35]
	s_waitcnt vmcnt(2)
	v_readfirstlane_b32 s56, v3
	v_readfirstlane_b32 s57, v4
	s_add_u32 s58, s56, 1
	s_addc_u32 s59, s57, 0
	s_add_u32 s4, s58, s52
	s_addc_u32 s5, s59, s53
	s_cmp_eq_u64 s[4:5], 0
	s_cselect_b32 s5, s59, s5
	s_cselect_b32 s4, s58, s4
	s_and_b64 s[52:53], s[4:5], s[56:57]
	s_mul_i32 s53, s53, 24
	s_mul_hi_u32 s56, s52, 24
	s_mul_i32 s52, s52, 24
	s_add_i32 s53, s56, s53
	v_mov_b32_e32 v1, s53
	s_waitcnt vmcnt(0)
	v_add_co_u32_e32 v3, vcc, s52, v9
	v_addc_co_u32_e32 v4, vcc, v10, v1, vcc
	v_mov_b32_e32 v15, s4
	global_store_dwordx2 v[3:4], v[17:18], off
	v_mov_b32_e32 v16, s5
	s_waitcnt vmcnt(0)
	global_atomic_cmpswap_x2 v[15:16], v2, v[15:18], s[34:35] offset:24 glc
	s_waitcnt vmcnt(0)
	v_cmp_ne_u64_e32 vcc, v[15:16], v[17:18]
	s_and_b64 exec, exec, vcc
	s_cbranch_execz .LBB5_475
; %bb.556:                              ;   in Loop: Header=BB5_476 Depth=2
	s_mov_b64 s[52:53], 0
.LBB5_557:                              ;   Parent Loop BB5_280 Depth=1
                                        ;     Parent Loop BB5_476 Depth=2
                                        ; =>    This Inner Loop Header: Depth=3
	s_sleep 1
	global_store_dwordx2 v[3:4], v[15:16], off
	v_mov_b32_e32 v13, s4
	v_mov_b32_e32 v14, s5
	s_waitcnt vmcnt(0)
	global_atomic_cmpswap_x2 v[9:10], v2, v[13:16], s[34:35] offset:24 glc
	s_waitcnt vmcnt(0)
	v_cmp_eq_u64_e32 vcc, v[9:10], v[15:16]
	v_mov_b32_e32 v16, v10
	s_or_b64 s[52:53], vcc, s[52:53]
	v_mov_b32_e32 v15, v9
	s_andn2_b64 exec, exec, s[52:53]
	s_cbranch_execnz .LBB5_557
	s_branch .LBB5_475
.LBB5_558:                              ;   in Loop: Header=BB5_280 Depth=1
	s_branch .LBB5_588
.LBB5_559:                              ;   in Loop: Header=BB5_280 Depth=1
	s_cbranch_execnz .LBB5_733
	s_branch .LBB5_873
.LBB5_560:                              ;   in Loop: Header=BB5_280 Depth=1
                                        ; implicit-def: $vgpr7_vgpr8
	s_cbranch_execz .LBB5_588
; %bb.561:                              ;   in Loop: Header=BB5_280 Depth=1
	v_readfirstlane_b32 s4, v45
	v_mov_b32_e32 v3, 0
	v_mov_b32_e32 v4, 0
	v_cmp_eq_u32_e64 s[4:5], s4, v45
	s_and_saveexec_b64 s[24:25], s[4:5]
	s_cbranch_execz .LBB5_567
; %bb.562:                              ;   in Loop: Header=BB5_280 Depth=1
	global_load_dwordx2 v[9:10], v2, s[34:35] offset:24 glc
	s_waitcnt vmcnt(0)
	buffer_wbinvl1_vol
	global_load_dwordx2 v[3:4], v2, s[34:35] offset:40
	global_load_dwordx2 v[7:8], v2, s[34:35]
	s_waitcnt vmcnt(1)
	v_and_b32_e32 v1, v3, v9
	v_and_b32_e32 v3, v4, v10
	v_mul_lo_u32 v3, v3, 24
	v_mul_hi_u32 v4, v1, 24
	v_mul_lo_u32 v1, v1, 24
	v_add_u32_e32 v4, v4, v3
	s_waitcnt vmcnt(0)
	v_add_co_u32_e32 v3, vcc, v7, v1
	v_addc_co_u32_e32 v4, vcc, v8, v4, vcc
	global_load_dwordx2 v[7:8], v[3:4], off glc
	s_waitcnt vmcnt(0)
	global_atomic_cmpswap_x2 v[3:4], v2, v[7:10], s[34:35] offset:24 glc
	s_waitcnt vmcnt(0)
	buffer_wbinvl1_vol
	v_cmp_ne_u64_e32 vcc, v[3:4], v[9:10]
	s_and_saveexec_b64 s[28:29], vcc
	s_cbranch_execz .LBB5_566
; %bb.563:                              ;   in Loop: Header=BB5_280 Depth=1
	s_mov_b64 s[30:31], 0
.LBB5_564:                              ;   Parent Loop BB5_280 Depth=1
                                        ; =>  This Inner Loop Header: Depth=2
	s_sleep 1
	global_load_dwordx2 v[7:8], v2, s[34:35] offset:40
	global_load_dwordx2 v[13:14], v2, s[34:35]
	v_mov_b32_e32 v10, v4
	v_mov_b32_e32 v9, v3
	s_waitcnt vmcnt(1)
	v_and_b32_e32 v1, v7, v9
	s_waitcnt vmcnt(0)
	v_mad_u64_u32 v[3:4], s[52:53], v1, 24, v[13:14]
	v_and_b32_e32 v7, v8, v10
	v_mov_b32_e32 v1, v4
	v_mad_u64_u32 v[7:8], s[52:53], v7, 24, v[1:2]
	v_mov_b32_e32 v4, v7
	global_load_dwordx2 v[7:8], v[3:4], off glc
	s_waitcnt vmcnt(0)
	global_atomic_cmpswap_x2 v[3:4], v2, v[7:10], s[34:35] offset:24 glc
	s_waitcnt vmcnt(0)
	buffer_wbinvl1_vol
	v_cmp_eq_u64_e32 vcc, v[3:4], v[9:10]
	s_or_b64 s[30:31], vcc, s[30:31]
	s_andn2_b64 exec, exec, s[30:31]
	s_cbranch_execnz .LBB5_564
; %bb.565:                              ;   in Loop: Header=BB5_280 Depth=1
	s_or_b64 exec, exec, s[30:31]
.LBB5_566:                              ;   in Loop: Header=BB5_280 Depth=1
	s_or_b64 exec, exec, s[28:29]
.LBB5_567:                              ;   in Loop: Header=BB5_280 Depth=1
	s_or_b64 exec, exec, s[24:25]
	global_load_dwordx2 v[13:14], v2, s[34:35] offset:40
	global_load_dwordx4 v[7:10], v2, s[34:35]
	v_readfirstlane_b32 s25, v4
	v_readfirstlane_b32 s24, v3
	s_mov_b64 s[28:29], exec
	s_waitcnt vmcnt(1)
	v_readfirstlane_b32 s30, v13
	v_readfirstlane_b32 s31, v14
	s_and_b64 s[30:31], s[30:31], s[24:25]
	s_mul_i32 s52, s31, 24
	s_mul_hi_u32 s53, s30, 24
	s_mul_i32 s54, s30, 24
	s_add_i32 s52, s53, s52
	v_mov_b32_e32 v1, s52
	s_waitcnt vmcnt(0)
	v_add_co_u32_e32 v15, vcc, s54, v7
	v_addc_co_u32_e32 v16, vcc, v8, v1, vcc
	s_and_saveexec_b64 s[52:53], s[4:5]
	s_cbranch_execz .LBB5_569
; %bb.568:                              ;   in Loop: Header=BB5_280 Depth=1
	v_mov_b32_e32 v3, s28
	v_mov_b32_e32 v4, s29
	global_store_dwordx4 v[15:16], v[3:6], off offset:8
.LBB5_569:                              ;   in Loop: Header=BB5_280 Depth=1
	s_or_b64 exec, exec, s[52:53]
	s_lshl_b64 s[28:29], s[30:31], 12
	v_mov_b32_e32 v1, s29
	v_add_co_u32_e32 v17, vcc, s28, v9
	v_addc_co_u32_e32 v18, vcc, v10, v1, vcc
	v_and_or_b32 v11, v11, s33, 32
	v_mov_b32_e32 v13, v2
	v_mov_b32_e32 v14, v2
	v_readfirstlane_b32 s28, v17
	v_readfirstlane_b32 s29, v18
	s_nop 4
	global_store_dwordx4 v44, v[11:14], s[28:29]
	s_nop 0
	v_mov_b32_e32 v12, s11
	v_mov_b32_e32 v11, s10
	;; [unrolled: 1-line block ×4, first 2 shown]
	global_store_dwordx4 v44, v[9:12], s[28:29] offset:16
	global_store_dwordx4 v44, v[9:12], s[28:29] offset:32
	;; [unrolled: 1-line block ×3, first 2 shown]
	s_and_saveexec_b64 s[28:29], s[4:5]
	s_cbranch_execz .LBB5_577
; %bb.570:                              ;   in Loop: Header=BB5_280 Depth=1
	global_load_dwordx2 v[11:12], v2, s[34:35] offset:32 glc
	global_load_dwordx2 v[3:4], v2, s[34:35] offset:40
	v_mov_b32_e32 v9, s24
	v_mov_b32_e32 v10, s25
	s_waitcnt vmcnt(0)
	v_readfirstlane_b32 s30, v3
	v_readfirstlane_b32 s31, v4
	s_and_b64 s[30:31], s[30:31], s[24:25]
	s_mul_i32 s31, s31, 24
	s_mul_hi_u32 s52, s30, 24
	s_mul_i32 s30, s30, 24
	s_add_i32 s31, s52, s31
	v_mov_b32_e32 v1, s31
	v_add_co_u32_e32 v3, vcc, s30, v7
	v_addc_co_u32_e32 v4, vcc, v8, v1, vcc
	global_store_dwordx2 v[3:4], v[11:12], off
	s_waitcnt vmcnt(0)
	global_atomic_cmpswap_x2 v[9:10], v2, v[9:12], s[34:35] offset:32 glc
	s_waitcnt vmcnt(0)
	v_cmp_ne_u64_e32 vcc, v[9:10], v[11:12]
	s_and_saveexec_b64 s[30:31], vcc
	s_cbranch_execz .LBB5_573
; %bb.571:                              ;   in Loop: Header=BB5_280 Depth=1
	s_mov_b64 s[52:53], 0
.LBB5_572:                              ;   Parent Loop BB5_280 Depth=1
                                        ; =>  This Inner Loop Header: Depth=2
	s_sleep 1
	global_store_dwordx2 v[3:4], v[9:10], off
	v_mov_b32_e32 v7, s24
	v_mov_b32_e32 v8, s25
	s_waitcnt vmcnt(0)
	global_atomic_cmpswap_x2 v[7:8], v2, v[7:10], s[34:35] offset:32 glc
	s_waitcnt vmcnt(0)
	v_cmp_eq_u64_e32 vcc, v[7:8], v[9:10]
	v_mov_b32_e32 v10, v8
	s_or_b64 s[52:53], vcc, s[52:53]
	v_mov_b32_e32 v9, v7
	s_andn2_b64 exec, exec, s[52:53]
	s_cbranch_execnz .LBB5_572
.LBB5_573:                              ;   in Loop: Header=BB5_280 Depth=1
	s_or_b64 exec, exec, s[30:31]
	global_load_dwordx2 v[3:4], v2, s[34:35] offset:16
	s_mov_b64 s[52:53], exec
	v_mbcnt_lo_u32_b32 v1, s52, 0
	v_mbcnt_hi_u32_b32 v1, s53, v1
	v_cmp_eq_u32_e32 vcc, 0, v1
	s_and_saveexec_b64 s[30:31], vcc
	s_cbranch_execz .LBB5_575
; %bb.574:                              ;   in Loop: Header=BB5_280 Depth=1
	s_bcnt1_i32_b64 s52, s[52:53]
	v_mov_b32_e32 v1, s52
	s_waitcnt vmcnt(0)
	global_atomic_add_x2 v[3:4], v[1:2], off offset:8
.LBB5_575:                              ;   in Loop: Header=BB5_280 Depth=1
	s_or_b64 exec, exec, s[30:31]
	s_waitcnt vmcnt(0)
	global_load_dwordx2 v[7:8], v[3:4], off offset:16
	s_waitcnt vmcnt(0)
	v_cmp_eq_u64_e32 vcc, 0, v[7:8]
	s_cbranch_vccnz .LBB5_577
; %bb.576:                              ;   in Loop: Header=BB5_280 Depth=1
	global_load_dword v1, v[3:4], off offset:24
	s_waitcnt vmcnt(0)
	v_readfirstlane_b32 s30, v1
	s_and_b32 m0, s30, 0xffffff
	global_store_dwordx2 v[7:8], v[1:2], off
	s_sendmsg sendmsg(MSG_INTERRUPT)
.LBB5_577:                              ;   in Loop: Header=BB5_280 Depth=1
	s_or_b64 exec, exec, s[28:29]
	v_add_co_u32_e32 v3, vcc, v17, v44
	v_addc_co_u32_e32 v4, vcc, 0, v18, vcc
	s_branch .LBB5_581
.LBB5_578:                              ;   in Loop: Header=BB5_581 Depth=2
	s_or_b64 exec, exec, s[28:29]
	v_readfirstlane_b32 s28, v1
	s_cmp_eq_u32 s28, 0
	s_cbranch_scc1 .LBB5_580
; %bb.579:                              ;   in Loop: Header=BB5_581 Depth=2
	s_sleep 1
	s_cbranch_execnz .LBB5_581
	s_branch .LBB5_583
.LBB5_580:                              ;   in Loop: Header=BB5_280 Depth=1
	s_branch .LBB5_583
.LBB5_581:                              ;   Parent Loop BB5_280 Depth=1
                                        ; =>  This Inner Loop Header: Depth=2
	v_mov_b32_e32 v1, 1
	s_and_saveexec_b64 s[28:29], s[4:5]
	s_cbranch_execz .LBB5_578
; %bb.582:                              ;   in Loop: Header=BB5_581 Depth=2
	global_load_dword v1, v[15:16], off offset:20 glc
	s_waitcnt vmcnt(0)
	buffer_wbinvl1_vol
	v_and_b32_e32 v1, 1, v1
	s_branch .LBB5_578
.LBB5_583:                              ;   in Loop: Header=BB5_280 Depth=1
	global_load_dwordx2 v[7:8], v[3:4], off
	s_and_saveexec_b64 s[28:29], s[4:5]
	s_cbranch_execz .LBB5_587
; %bb.584:                              ;   in Loop: Header=BB5_280 Depth=1
	global_load_dwordx2 v[3:4], v2, s[34:35] offset:40
	global_load_dwordx2 v[13:14], v2, s[34:35] offset:24 glc
	global_load_dwordx2 v[9:10], v2, s[34:35]
	s_waitcnt vmcnt(2)
	v_readfirstlane_b32 s30, v3
	v_readfirstlane_b32 s31, v4
	s_add_u32 s52, s30, 1
	s_addc_u32 s53, s31, 0
	s_add_u32 s4, s52, s24
	s_addc_u32 s5, s53, s25
	s_cmp_eq_u64 s[4:5], 0
	s_cselect_b32 s5, s53, s5
	s_cselect_b32 s4, s52, s4
	s_and_b64 s[24:25], s[4:5], s[30:31]
	s_mul_i32 s25, s25, 24
	s_mul_hi_u32 s30, s24, 24
	s_mul_i32 s24, s24, 24
	s_add_i32 s25, s30, s25
	v_mov_b32_e32 v1, s25
	s_waitcnt vmcnt(0)
	v_add_co_u32_e32 v3, vcc, s24, v9
	v_addc_co_u32_e32 v4, vcc, v10, v1, vcc
	v_mov_b32_e32 v11, s4
	global_store_dwordx2 v[3:4], v[13:14], off
	v_mov_b32_e32 v12, s5
	s_waitcnt vmcnt(0)
	global_atomic_cmpswap_x2 v[11:12], v2, v[11:14], s[34:35] offset:24 glc
	s_waitcnt vmcnt(0)
	v_cmp_ne_u64_e32 vcc, v[11:12], v[13:14]
	s_and_b64 exec, exec, vcc
	s_cbranch_execz .LBB5_587
; %bb.585:                              ;   in Loop: Header=BB5_280 Depth=1
	s_mov_b64 s[24:25], 0
.LBB5_586:                              ;   Parent Loop BB5_280 Depth=1
                                        ; =>  This Inner Loop Header: Depth=2
	s_sleep 1
	global_store_dwordx2 v[3:4], v[11:12], off
	v_mov_b32_e32 v9, s4
	v_mov_b32_e32 v10, s5
	s_waitcnt vmcnt(0)
	global_atomic_cmpswap_x2 v[9:10], v2, v[9:12], s[34:35] offset:24 glc
	s_waitcnt vmcnt(0)
	v_cmp_eq_u64_e32 vcc, v[9:10], v[11:12]
	v_mov_b32_e32 v12, v10
	s_or_b64 s[24:25], vcc, s[24:25]
	v_mov_b32_e32 v11, v9
	s_andn2_b64 exec, exec, s[24:25]
	s_cbranch_execnz .LBB5_586
.LBB5_587:                              ;   in Loop: Header=BB5_280 Depth=1
	s_or_b64 exec, exec, s[28:29]
.LBB5_588:                              ;   in Loop: Header=BB5_280 Depth=1
	s_and_b32 s28, s61, 1
	s_getpc_b64 s[4:5]
	s_add_u32 s4, s4, .str.5@rel32@lo+4
	s_addc_u32 s5, s5, .str.5@rel32@hi+12
	s_getpc_b64 s[24:25]
	s_add_u32 s24, s24, .str.4@rel32@lo+4
	s_addc_u32 s25, s25, .str.4@rel32@hi+12
	s_cmp_eq_u32 s28, 0
	s_cselect_b32 s25, s5, s25
	s_cselect_b32 s24, s4, s24
	s_cmp_lg_u64 s[24:25], 0
	s_cselect_b64 s[4:5], -1, 0
	s_cmp_eq_u64 s[24:25], 0
	s_mov_b64 s[28:29], 0
	s_cbranch_scc1 .LBB5_592
; %bb.589:                              ;   in Loop: Header=BB5_280 Depth=1
	s_add_u32 s28, s24, -1
	s_addc_u32 s29, s25, -1
.LBB5_590:                              ;   Parent Loop BB5_280 Depth=1
                                        ; =>  This Inner Loop Header: Depth=2
	global_load_ubyte v1, v2, s[28:29] offset:1
	s_add_u32 s30, s28, 1
	s_addc_u32 s31, s29, 0
	s_mov_b64 s[28:29], s[30:31]
	s_waitcnt vmcnt(0)
	v_cmp_ne_u32_e32 vcc, 0, v1
	s_cbranch_vccnz .LBB5_590
; %bb.591:                              ;   in Loop: Header=BB5_280 Depth=1
	s_sub_u32 s28, s30, s24
	s_subb_u32 s29, s31, s25
	s_add_u32 s28, s28, 1
	s_addc_u32 s29, s29, 0
.LBB5_592:                              ;   in Loop: Header=BB5_280 Depth=1
	s_and_b64 vcc, exec, s[4:5]
	s_cbranch_vccz .LBB5_678
; %bb.593:                              ;   in Loop: Header=BB5_280 Depth=1
	s_waitcnt vmcnt(0)
	v_and_b32_e32 v31, 2, v7
	v_and_b32_e32 v9, -3, v7
	v_mov_b32_e32 v10, v8
	s_branch .LBB5_595
.LBB5_594:                              ;   in Loop: Header=BB5_595 Depth=2
	s_or_b64 exec, exec, s[54:55]
	s_sub_u32 s28, s28, s30
	s_subb_u32 s29, s29, s31
	s_add_u32 s24, s24, s30
	s_addc_u32 s25, s25, s31
	s_cmp_lg_u64 s[28:29], 0
	s_cbranch_scc0 .LBB5_677
.LBB5_595:                              ;   Parent Loop BB5_280 Depth=1
                                        ; =>  This Loop Header: Depth=2
                                        ;       Child Loop BB5_598 Depth 3
                                        ;       Child Loop BB5_606 Depth 3
	;; [unrolled: 1-line block ×11, first 2 shown]
	v_cmp_lt_u64_e64 s[4:5], s[28:29], 56
	v_cmp_gt_u64_e64 s[52:53], s[28:29], 7
	s_and_b64 s[4:5], s[4:5], exec
	s_cselect_b32 s31, s29, 0
	s_cselect_b32 s30, s28, 56
	s_add_u32 s4, s24, 8
	s_addc_u32 s5, s25, 0
	s_and_b64 vcc, exec, s[52:53]
	s_cbranch_vccnz .LBB5_599
; %bb.596:                              ;   in Loop: Header=BB5_595 Depth=2
	s_cmp_eq_u64 s[28:29], 0
	s_cbranch_scc1 .LBB5_600
; %bb.597:                              ;   in Loop: Header=BB5_595 Depth=2
	v_mov_b32_e32 v11, 0
	s_lshl_b64 s[4:5], s[30:31], 3
	s_mov_b64 s[52:53], 0
	v_mov_b32_e32 v12, 0
	s_mov_b64 s[54:55], s[24:25]
.LBB5_598:                              ;   Parent Loop BB5_280 Depth=1
                                        ;     Parent Loop BB5_595 Depth=2
                                        ; =>    This Inner Loop Header: Depth=3
	global_load_ubyte v1, v2, s[54:55]
	s_waitcnt vmcnt(0)
	v_and_b32_e32 v1, 0xffff, v1
	v_lshlrev_b64 v[3:4], s52, v[1:2]
	s_add_u32 s52, s52, 8
	s_addc_u32 s53, s53, 0
	s_add_u32 s54, s54, 1
	s_addc_u32 s55, s55, 0
	v_or_b32_e32 v11, v3, v11
	s_cmp_lg_u32 s4, s52
	v_or_b32_e32 v12, v4, v12
	s_cbranch_scc1 .LBB5_598
	s_branch .LBB5_601
.LBB5_599:                              ;   in Loop: Header=BB5_595 Depth=2
	s_mov_b32 s56, 0
	s_branch .LBB5_602
.LBB5_600:                              ;   in Loop: Header=BB5_595 Depth=2
	v_mov_b32_e32 v11, 0
	v_mov_b32_e32 v12, 0
.LBB5_601:                              ;   in Loop: Header=BB5_595 Depth=2
	s_mov_b64 s[4:5], s[24:25]
	s_mov_b32 s56, 0
	s_cbranch_execnz .LBB5_603
.LBB5_602:                              ;   in Loop: Header=BB5_595 Depth=2
	global_load_dwordx2 v[11:12], v2, s[24:25]
	s_add_i32 s56, s30, -8
.LBB5_603:                              ;   in Loop: Header=BB5_595 Depth=2
	s_add_u32 s52, s4, 8
	s_addc_u32 s53, s5, 0
	s_cmp_gt_u32 s56, 7
	s_cbranch_scc1 .LBB5_607
; %bb.604:                              ;   in Loop: Header=BB5_595 Depth=2
	s_cmp_eq_u32 s56, 0
	s_cbranch_scc1 .LBB5_608
; %bb.605:                              ;   in Loop: Header=BB5_595 Depth=2
	v_mov_b32_e32 v13, 0
	s_mov_b64 s[52:53], 0
	v_mov_b32_e32 v14, 0
	s_mov_b64 s[54:55], 0
.LBB5_606:                              ;   Parent Loop BB5_280 Depth=1
                                        ;     Parent Loop BB5_595 Depth=2
                                        ; =>    This Inner Loop Header: Depth=3
	s_add_u32 s58, s4, s54
	s_addc_u32 s59, s5, s55
	global_load_ubyte v1, v2, s[58:59]
	s_add_u32 s54, s54, 1
	s_addc_u32 s55, s55, 0
	s_waitcnt vmcnt(0)
	v_and_b32_e32 v1, 0xffff, v1
	v_lshlrev_b64 v[3:4], s52, v[1:2]
	s_add_u32 s52, s52, 8
	s_addc_u32 s53, s53, 0
	v_or_b32_e32 v13, v3, v13
	s_cmp_lg_u32 s56, s54
	v_or_b32_e32 v14, v4, v14
	s_cbranch_scc1 .LBB5_606
	s_branch .LBB5_609
.LBB5_607:                              ;   in Loop: Header=BB5_595 Depth=2
                                        ; implicit-def: $vgpr13_vgpr14
	s_mov_b32 s57, 0
	s_branch .LBB5_610
.LBB5_608:                              ;   in Loop: Header=BB5_595 Depth=2
	v_mov_b32_e32 v13, 0
	v_mov_b32_e32 v14, 0
.LBB5_609:                              ;   in Loop: Header=BB5_595 Depth=2
	s_mov_b64 s[52:53], s[4:5]
	s_mov_b32 s57, 0
	s_cbranch_execnz .LBB5_611
.LBB5_610:                              ;   in Loop: Header=BB5_595 Depth=2
	global_load_dwordx2 v[13:14], v2, s[4:5]
	s_add_i32 s57, s56, -8
.LBB5_611:                              ;   in Loop: Header=BB5_595 Depth=2
	s_add_u32 s4, s52, 8
	s_addc_u32 s5, s53, 0
	s_cmp_gt_u32 s57, 7
	s_cbranch_scc1 .LBB5_615
; %bb.612:                              ;   in Loop: Header=BB5_595 Depth=2
	s_cmp_eq_u32 s57, 0
	s_cbranch_scc1 .LBB5_616
; %bb.613:                              ;   in Loop: Header=BB5_595 Depth=2
	v_mov_b32_e32 v15, 0
	s_mov_b64 s[4:5], 0
	v_mov_b32_e32 v16, 0
	s_mov_b64 s[54:55], 0
.LBB5_614:                              ;   Parent Loop BB5_280 Depth=1
                                        ;     Parent Loop BB5_595 Depth=2
                                        ; =>    This Inner Loop Header: Depth=3
	s_add_u32 s58, s52, s54
	s_addc_u32 s59, s53, s55
	global_load_ubyte v1, v2, s[58:59]
	s_add_u32 s54, s54, 1
	s_addc_u32 s55, s55, 0
	s_waitcnt vmcnt(0)
	v_and_b32_e32 v1, 0xffff, v1
	v_lshlrev_b64 v[3:4], s4, v[1:2]
	s_add_u32 s4, s4, 8
	s_addc_u32 s5, s5, 0
	v_or_b32_e32 v15, v3, v15
	s_cmp_lg_u32 s57, s54
	v_or_b32_e32 v16, v4, v16
	s_cbranch_scc1 .LBB5_614
	s_branch .LBB5_617
.LBB5_615:                              ;   in Loop: Header=BB5_595 Depth=2
	s_mov_b32 s56, 0
	s_branch .LBB5_618
.LBB5_616:                              ;   in Loop: Header=BB5_595 Depth=2
	v_mov_b32_e32 v15, 0
	v_mov_b32_e32 v16, 0
.LBB5_617:                              ;   in Loop: Header=BB5_595 Depth=2
	s_mov_b64 s[4:5], s[52:53]
	s_mov_b32 s56, 0
	s_cbranch_execnz .LBB5_619
.LBB5_618:                              ;   in Loop: Header=BB5_595 Depth=2
	global_load_dwordx2 v[15:16], v2, s[52:53]
	s_add_i32 s56, s57, -8
.LBB5_619:                              ;   in Loop: Header=BB5_595 Depth=2
	s_add_u32 s52, s4, 8
	s_addc_u32 s53, s5, 0
	s_cmp_gt_u32 s56, 7
	s_cbranch_scc1 .LBB5_623
; %bb.620:                              ;   in Loop: Header=BB5_595 Depth=2
	s_cmp_eq_u32 s56, 0
	s_cbranch_scc1 .LBB5_624
; %bb.621:                              ;   in Loop: Header=BB5_595 Depth=2
	v_mov_b32_e32 v17, 0
	s_mov_b64 s[52:53], 0
	v_mov_b32_e32 v18, 0
	s_mov_b64 s[54:55], 0
.LBB5_622:                              ;   Parent Loop BB5_280 Depth=1
                                        ;     Parent Loop BB5_595 Depth=2
                                        ; =>    This Inner Loop Header: Depth=3
	s_add_u32 s58, s4, s54
	s_addc_u32 s59, s5, s55
	global_load_ubyte v1, v2, s[58:59]
	s_add_u32 s54, s54, 1
	s_addc_u32 s55, s55, 0
	s_waitcnt vmcnt(0)
	v_and_b32_e32 v1, 0xffff, v1
	v_lshlrev_b64 v[3:4], s52, v[1:2]
	s_add_u32 s52, s52, 8
	s_addc_u32 s53, s53, 0
	v_or_b32_e32 v17, v3, v17
	s_cmp_lg_u32 s56, s54
	v_or_b32_e32 v18, v4, v18
	s_cbranch_scc1 .LBB5_622
	s_branch .LBB5_625
.LBB5_623:                              ;   in Loop: Header=BB5_595 Depth=2
                                        ; implicit-def: $vgpr17_vgpr18
	s_mov_b32 s57, 0
	s_branch .LBB5_626
.LBB5_624:                              ;   in Loop: Header=BB5_595 Depth=2
	v_mov_b32_e32 v17, 0
	v_mov_b32_e32 v18, 0
.LBB5_625:                              ;   in Loop: Header=BB5_595 Depth=2
	s_mov_b64 s[52:53], s[4:5]
	s_mov_b32 s57, 0
	s_cbranch_execnz .LBB5_627
.LBB5_626:                              ;   in Loop: Header=BB5_595 Depth=2
	global_load_dwordx2 v[17:18], v2, s[4:5]
	s_add_i32 s57, s56, -8
.LBB5_627:                              ;   in Loop: Header=BB5_595 Depth=2
	s_add_u32 s4, s52, 8
	s_addc_u32 s5, s53, 0
	s_cmp_gt_u32 s57, 7
	s_cbranch_scc1 .LBB5_631
; %bb.628:                              ;   in Loop: Header=BB5_595 Depth=2
	s_cmp_eq_u32 s57, 0
	s_cbranch_scc1 .LBB5_632
; %bb.629:                              ;   in Loop: Header=BB5_595 Depth=2
	v_mov_b32_e32 v19, 0
	s_mov_b64 s[4:5], 0
	v_mov_b32_e32 v20, 0
	s_mov_b64 s[54:55], 0
.LBB5_630:                              ;   Parent Loop BB5_280 Depth=1
                                        ;     Parent Loop BB5_595 Depth=2
                                        ; =>    This Inner Loop Header: Depth=3
	s_add_u32 s58, s52, s54
	s_addc_u32 s59, s53, s55
	global_load_ubyte v1, v2, s[58:59]
	s_add_u32 s54, s54, 1
	s_addc_u32 s55, s55, 0
	s_waitcnt vmcnt(0)
	v_and_b32_e32 v1, 0xffff, v1
	v_lshlrev_b64 v[3:4], s4, v[1:2]
	s_add_u32 s4, s4, 8
	s_addc_u32 s5, s5, 0
	v_or_b32_e32 v19, v3, v19
	s_cmp_lg_u32 s57, s54
	v_or_b32_e32 v20, v4, v20
	s_cbranch_scc1 .LBB5_630
	s_branch .LBB5_633
.LBB5_631:                              ;   in Loop: Header=BB5_595 Depth=2
	s_mov_b32 s56, 0
	s_branch .LBB5_634
.LBB5_632:                              ;   in Loop: Header=BB5_595 Depth=2
	v_mov_b32_e32 v19, 0
	v_mov_b32_e32 v20, 0
.LBB5_633:                              ;   in Loop: Header=BB5_595 Depth=2
	s_mov_b64 s[4:5], s[52:53]
	s_mov_b32 s56, 0
	s_cbranch_execnz .LBB5_635
.LBB5_634:                              ;   in Loop: Header=BB5_595 Depth=2
	global_load_dwordx2 v[19:20], v2, s[52:53]
	s_add_i32 s56, s57, -8
.LBB5_635:                              ;   in Loop: Header=BB5_595 Depth=2
	s_add_u32 s52, s4, 8
	s_addc_u32 s53, s5, 0
	s_cmp_gt_u32 s56, 7
	s_cbranch_scc1 .LBB5_639
; %bb.636:                              ;   in Loop: Header=BB5_595 Depth=2
	s_cmp_eq_u32 s56, 0
	s_cbranch_scc1 .LBB5_640
; %bb.637:                              ;   in Loop: Header=BB5_595 Depth=2
	v_mov_b32_e32 v21, 0
	s_mov_b64 s[52:53], 0
	v_mov_b32_e32 v22, 0
	s_mov_b64 s[54:55], 0
.LBB5_638:                              ;   Parent Loop BB5_280 Depth=1
                                        ;     Parent Loop BB5_595 Depth=2
                                        ; =>    This Inner Loop Header: Depth=3
	s_add_u32 s58, s4, s54
	s_addc_u32 s59, s5, s55
	global_load_ubyte v1, v2, s[58:59]
	s_add_u32 s54, s54, 1
	s_addc_u32 s55, s55, 0
	s_waitcnt vmcnt(0)
	v_and_b32_e32 v1, 0xffff, v1
	v_lshlrev_b64 v[3:4], s52, v[1:2]
	s_add_u32 s52, s52, 8
	s_addc_u32 s53, s53, 0
	v_or_b32_e32 v21, v3, v21
	s_cmp_lg_u32 s56, s54
	v_or_b32_e32 v22, v4, v22
	s_cbranch_scc1 .LBB5_638
	s_branch .LBB5_641
.LBB5_639:                              ;   in Loop: Header=BB5_595 Depth=2
                                        ; implicit-def: $vgpr21_vgpr22
	s_mov_b32 s57, 0
	s_branch .LBB5_642
.LBB5_640:                              ;   in Loop: Header=BB5_595 Depth=2
	v_mov_b32_e32 v21, 0
	v_mov_b32_e32 v22, 0
.LBB5_641:                              ;   in Loop: Header=BB5_595 Depth=2
	s_mov_b64 s[52:53], s[4:5]
	s_mov_b32 s57, 0
	s_cbranch_execnz .LBB5_643
.LBB5_642:                              ;   in Loop: Header=BB5_595 Depth=2
	global_load_dwordx2 v[21:22], v2, s[4:5]
	s_add_i32 s57, s56, -8
.LBB5_643:                              ;   in Loop: Header=BB5_595 Depth=2
	s_cmp_gt_u32 s57, 7
	s_cbranch_scc1 .LBB5_647
; %bb.644:                              ;   in Loop: Header=BB5_595 Depth=2
	s_cmp_eq_u32 s57, 0
	s_cbranch_scc1 .LBB5_648
; %bb.645:                              ;   in Loop: Header=BB5_595 Depth=2
	v_mov_b32_e32 v23, 0
	s_mov_b64 s[4:5], 0
	v_mov_b32_e32 v24, 0
	s_mov_b64 s[54:55], s[52:53]
.LBB5_646:                              ;   Parent Loop BB5_280 Depth=1
                                        ;     Parent Loop BB5_595 Depth=2
                                        ; =>    This Inner Loop Header: Depth=3
	global_load_ubyte v1, v2, s[54:55]
	s_add_i32 s57, s57, -1
	s_waitcnt vmcnt(0)
	v_and_b32_e32 v1, 0xffff, v1
	v_lshlrev_b64 v[3:4], s4, v[1:2]
	s_add_u32 s4, s4, 8
	s_addc_u32 s5, s5, 0
	s_add_u32 s54, s54, 1
	s_addc_u32 s55, s55, 0
	v_or_b32_e32 v23, v3, v23
	s_cmp_lg_u32 s57, 0
	v_or_b32_e32 v24, v4, v24
	s_cbranch_scc1 .LBB5_646
	s_branch .LBB5_649
.LBB5_647:                              ;   in Loop: Header=BB5_595 Depth=2
	s_branch .LBB5_650
.LBB5_648:                              ;   in Loop: Header=BB5_595 Depth=2
	v_mov_b32_e32 v23, 0
	v_mov_b32_e32 v24, 0
.LBB5_649:                              ;   in Loop: Header=BB5_595 Depth=2
	s_cbranch_execnz .LBB5_651
.LBB5_650:                              ;   in Loop: Header=BB5_595 Depth=2
	global_load_dwordx2 v[23:24], v2, s[52:53]
.LBB5_651:                              ;   in Loop: Header=BB5_595 Depth=2
	v_readfirstlane_b32 s4, v45
	v_mov_b32_e32 v3, 0
	v_mov_b32_e32 v4, 0
	v_cmp_eq_u32_e64 s[4:5], s4, v45
	s_and_saveexec_b64 s[52:53], s[4:5]
	s_cbranch_execz .LBB5_657
; %bb.652:                              ;   in Loop: Header=BB5_595 Depth=2
	global_load_dwordx2 v[27:28], v2, s[34:35] offset:24 glc
	s_waitcnt vmcnt(0)
	buffer_wbinvl1_vol
	global_load_dwordx2 v[3:4], v2, s[34:35] offset:40
	global_load_dwordx2 v[25:26], v2, s[34:35]
	s_waitcnt vmcnt(1)
	v_and_b32_e32 v1, v3, v27
	v_and_b32_e32 v3, v4, v28
	v_mul_lo_u32 v3, v3, 24
	v_mul_hi_u32 v4, v1, 24
	v_mul_lo_u32 v1, v1, 24
	v_add_u32_e32 v4, v4, v3
	s_waitcnt vmcnt(0)
	v_add_co_u32_e32 v3, vcc, v25, v1
	v_addc_co_u32_e32 v4, vcc, v26, v4, vcc
	global_load_dwordx2 v[25:26], v[3:4], off glc
	s_waitcnt vmcnt(0)
	global_atomic_cmpswap_x2 v[3:4], v2, v[25:28], s[34:35] offset:24 glc
	s_waitcnt vmcnt(0)
	buffer_wbinvl1_vol
	v_cmp_ne_u64_e32 vcc, v[3:4], v[27:28]
	s_and_saveexec_b64 s[54:55], vcc
	s_cbranch_execz .LBB5_656
; %bb.653:                              ;   in Loop: Header=BB5_595 Depth=2
	s_mov_b64 s[56:57], 0
.LBB5_654:                              ;   Parent Loop BB5_280 Depth=1
                                        ;     Parent Loop BB5_595 Depth=2
                                        ; =>    This Inner Loop Header: Depth=3
	s_sleep 1
	global_load_dwordx2 v[25:26], v2, s[34:35] offset:40
	global_load_dwordx2 v[29:30], v2, s[34:35]
	v_mov_b32_e32 v28, v4
	v_mov_b32_e32 v27, v3
	s_waitcnt vmcnt(1)
	v_and_b32_e32 v1, v25, v27
	s_waitcnt vmcnt(0)
	v_mad_u64_u32 v[3:4], s[58:59], v1, 24, v[29:30]
	v_and_b32_e32 v25, v26, v28
	v_mov_b32_e32 v1, v4
	v_mad_u64_u32 v[25:26], s[58:59], v25, 24, v[1:2]
	v_mov_b32_e32 v4, v25
	global_load_dwordx2 v[25:26], v[3:4], off glc
	s_waitcnt vmcnt(0)
	global_atomic_cmpswap_x2 v[3:4], v2, v[25:28], s[34:35] offset:24 glc
	s_waitcnt vmcnt(0)
	buffer_wbinvl1_vol
	v_cmp_eq_u64_e32 vcc, v[3:4], v[27:28]
	s_or_b64 s[56:57], vcc, s[56:57]
	s_andn2_b64 exec, exec, s[56:57]
	s_cbranch_execnz .LBB5_654
; %bb.655:                              ;   in Loop: Header=BB5_595 Depth=2
	s_or_b64 exec, exec, s[56:57]
.LBB5_656:                              ;   in Loop: Header=BB5_595 Depth=2
	s_or_b64 exec, exec, s[54:55]
.LBB5_657:                              ;   in Loop: Header=BB5_595 Depth=2
	s_or_b64 exec, exec, s[52:53]
	global_load_dwordx2 v[29:30], v2, s[34:35] offset:40
	global_load_dwordx4 v[25:28], v2, s[34:35]
	v_readfirstlane_b32 s53, v4
	v_readfirstlane_b32 s52, v3
	s_mov_b64 s[54:55], exec
	s_waitcnt vmcnt(1)
	v_readfirstlane_b32 s56, v29
	v_readfirstlane_b32 s57, v30
	s_and_b64 s[56:57], s[56:57], s[52:53]
	s_mul_i32 s58, s57, 24
	s_mul_hi_u32 s59, s56, 24
	s_mul_i32 s62, s56, 24
	s_add_i32 s58, s59, s58
	v_mov_b32_e32 v1, s58
	s_waitcnt vmcnt(0)
	v_add_co_u32_e32 v29, vcc, s62, v25
	v_addc_co_u32_e32 v30, vcc, v26, v1, vcc
	s_and_saveexec_b64 s[58:59], s[4:5]
	s_cbranch_execz .LBB5_659
; %bb.658:                              ;   in Loop: Header=BB5_595 Depth=2
	v_mov_b32_e32 v3, s54
	v_mov_b32_e32 v4, s55
	global_store_dwordx4 v[29:30], v[3:6], off offset:8
.LBB5_659:                              ;   in Loop: Header=BB5_595 Depth=2
	s_or_b64 exec, exec, s[58:59]
	s_lshl_b64 s[54:55], s[56:57], 12
	v_mov_b32_e32 v1, s55
	v_add_co_u32_e32 v27, vcc, s54, v27
	v_addc_co_u32_e32 v28, vcc, v28, v1, vcc
	v_cmp_lt_u64_e64 vcc, s[28:29], 57
	s_lshl_b32 s54, s30, 2
	v_cndmask_b32_e32 v1, 0, v31, vcc
	s_add_i32 s54, s54, 28
	v_and_b32_e32 v3, 0xffffff1f, v9
	s_and_b32 s54, s54, 0x1e0
	v_or_b32_e32 v1, v3, v1
	v_or_b32_e32 v9, s54, v1
	v_readfirstlane_b32 s54, v27
	v_readfirstlane_b32 s55, v28
	s_nop 4
	global_store_dwordx4 v44, v[9:12], s[54:55]
	global_store_dwordx4 v44, v[13:16], s[54:55] offset:16
	global_store_dwordx4 v44, v[17:20], s[54:55] offset:32
	;; [unrolled: 1-line block ×3, first 2 shown]
	s_and_saveexec_b64 s[54:55], s[4:5]
	s_cbranch_execz .LBB5_667
; %bb.660:                              ;   in Loop: Header=BB5_595 Depth=2
	global_load_dwordx2 v[13:14], v2, s[34:35] offset:32 glc
	global_load_dwordx2 v[3:4], v2, s[34:35] offset:40
	v_mov_b32_e32 v11, s52
	v_mov_b32_e32 v12, s53
	s_waitcnt vmcnt(0)
	v_readfirstlane_b32 s56, v3
	v_readfirstlane_b32 s57, v4
	s_and_b64 s[56:57], s[56:57], s[52:53]
	s_mul_i32 s57, s57, 24
	s_mul_hi_u32 s58, s56, 24
	s_mul_i32 s56, s56, 24
	s_add_i32 s57, s58, s57
	v_mov_b32_e32 v1, s57
	v_add_co_u32_e32 v3, vcc, s56, v25
	v_addc_co_u32_e32 v4, vcc, v26, v1, vcc
	global_store_dwordx2 v[3:4], v[13:14], off
	s_waitcnt vmcnt(0)
	global_atomic_cmpswap_x2 v[11:12], v2, v[11:14], s[34:35] offset:32 glc
	s_waitcnt vmcnt(0)
	v_cmp_ne_u64_e32 vcc, v[11:12], v[13:14]
	s_and_saveexec_b64 s[56:57], vcc
	s_cbranch_execz .LBB5_663
; %bb.661:                              ;   in Loop: Header=BB5_595 Depth=2
	s_mov_b64 s[58:59], 0
.LBB5_662:                              ;   Parent Loop BB5_280 Depth=1
                                        ;     Parent Loop BB5_595 Depth=2
                                        ; =>    This Inner Loop Header: Depth=3
	s_sleep 1
	global_store_dwordx2 v[3:4], v[11:12], off
	v_mov_b32_e32 v9, s52
	v_mov_b32_e32 v10, s53
	s_waitcnt vmcnt(0)
	global_atomic_cmpswap_x2 v[9:10], v2, v[9:12], s[34:35] offset:32 glc
	s_waitcnt vmcnt(0)
	v_cmp_eq_u64_e32 vcc, v[9:10], v[11:12]
	v_mov_b32_e32 v12, v10
	s_or_b64 s[58:59], vcc, s[58:59]
	v_mov_b32_e32 v11, v9
	s_andn2_b64 exec, exec, s[58:59]
	s_cbranch_execnz .LBB5_662
.LBB5_663:                              ;   in Loop: Header=BB5_595 Depth=2
	s_or_b64 exec, exec, s[56:57]
	global_load_dwordx2 v[3:4], v2, s[34:35] offset:16
	s_mov_b64 s[58:59], exec
	v_mbcnt_lo_u32_b32 v1, s58, 0
	v_mbcnt_hi_u32_b32 v1, s59, v1
	v_cmp_eq_u32_e32 vcc, 0, v1
	s_and_saveexec_b64 s[56:57], vcc
	s_cbranch_execz .LBB5_665
; %bb.664:                              ;   in Loop: Header=BB5_595 Depth=2
	s_bcnt1_i32_b64 s58, s[58:59]
	v_mov_b32_e32 v1, s58
	s_waitcnt vmcnt(0)
	global_atomic_add_x2 v[3:4], v[1:2], off offset:8
.LBB5_665:                              ;   in Loop: Header=BB5_595 Depth=2
	s_or_b64 exec, exec, s[56:57]
	s_waitcnt vmcnt(0)
	global_load_dwordx2 v[9:10], v[3:4], off offset:16
	s_waitcnt vmcnt(0)
	v_cmp_eq_u64_e32 vcc, 0, v[9:10]
	s_cbranch_vccnz .LBB5_667
; %bb.666:                              ;   in Loop: Header=BB5_595 Depth=2
	global_load_dword v1, v[3:4], off offset:24
	s_waitcnt vmcnt(0)
	v_readfirstlane_b32 s56, v1
	s_and_b32 m0, s56, 0xffffff
	global_store_dwordx2 v[9:10], v[1:2], off
	s_sendmsg sendmsg(MSG_INTERRUPT)
.LBB5_667:                              ;   in Loop: Header=BB5_595 Depth=2
	s_or_b64 exec, exec, s[54:55]
	v_add_co_u32_e32 v3, vcc, v27, v44
	v_addc_co_u32_e32 v4, vcc, 0, v28, vcc
	s_branch .LBB5_671
.LBB5_668:                              ;   in Loop: Header=BB5_671 Depth=3
	s_or_b64 exec, exec, s[54:55]
	v_readfirstlane_b32 s54, v1
	s_cmp_eq_u32 s54, 0
	s_cbranch_scc1 .LBB5_670
; %bb.669:                              ;   in Loop: Header=BB5_671 Depth=3
	s_sleep 1
	s_cbranch_execnz .LBB5_671
	s_branch .LBB5_673
.LBB5_670:                              ;   in Loop: Header=BB5_595 Depth=2
	s_branch .LBB5_673
.LBB5_671:                              ;   Parent Loop BB5_280 Depth=1
                                        ;     Parent Loop BB5_595 Depth=2
                                        ; =>    This Inner Loop Header: Depth=3
	v_mov_b32_e32 v1, 1
	s_and_saveexec_b64 s[54:55], s[4:5]
	s_cbranch_execz .LBB5_668
; %bb.672:                              ;   in Loop: Header=BB5_671 Depth=3
	global_load_dword v1, v[29:30], off offset:20 glc
	s_waitcnt vmcnt(0)
	buffer_wbinvl1_vol
	v_and_b32_e32 v1, 1, v1
	s_branch .LBB5_668
.LBB5_673:                              ;   in Loop: Header=BB5_595 Depth=2
	global_load_dwordx2 v[9:10], v[3:4], off
	s_and_saveexec_b64 s[54:55], s[4:5]
	s_cbranch_execz .LBB5_594
; %bb.674:                              ;   in Loop: Header=BB5_595 Depth=2
	global_load_dwordx2 v[3:4], v2, s[34:35] offset:40
	global_load_dwordx2 v[15:16], v2, s[34:35] offset:24 glc
	global_load_dwordx2 v[11:12], v2, s[34:35]
	s_waitcnt vmcnt(2)
	v_readfirstlane_b32 s56, v3
	v_readfirstlane_b32 s57, v4
	s_add_u32 s58, s56, 1
	s_addc_u32 s59, s57, 0
	s_add_u32 s4, s58, s52
	s_addc_u32 s5, s59, s53
	s_cmp_eq_u64 s[4:5], 0
	s_cselect_b32 s5, s59, s5
	s_cselect_b32 s4, s58, s4
	s_and_b64 s[52:53], s[4:5], s[56:57]
	s_mul_i32 s53, s53, 24
	s_mul_hi_u32 s56, s52, 24
	s_mul_i32 s52, s52, 24
	s_add_i32 s53, s56, s53
	v_mov_b32_e32 v1, s53
	s_waitcnt vmcnt(0)
	v_add_co_u32_e32 v3, vcc, s52, v11
	v_addc_co_u32_e32 v4, vcc, v12, v1, vcc
	v_mov_b32_e32 v13, s4
	global_store_dwordx2 v[3:4], v[15:16], off
	v_mov_b32_e32 v14, s5
	s_waitcnt vmcnt(0)
	global_atomic_cmpswap_x2 v[13:14], v2, v[13:16], s[34:35] offset:24 glc
	s_waitcnt vmcnt(0)
	v_cmp_ne_u64_e32 vcc, v[13:14], v[15:16]
	s_and_b64 exec, exec, vcc
	s_cbranch_execz .LBB5_594
; %bb.675:                              ;   in Loop: Header=BB5_595 Depth=2
	s_mov_b64 s[52:53], 0
.LBB5_676:                              ;   Parent Loop BB5_280 Depth=1
                                        ;     Parent Loop BB5_595 Depth=2
                                        ; =>    This Inner Loop Header: Depth=3
	s_sleep 1
	global_store_dwordx2 v[3:4], v[13:14], off
	v_mov_b32_e32 v11, s4
	v_mov_b32_e32 v12, s5
	s_waitcnt vmcnt(0)
	global_atomic_cmpswap_x2 v[11:12], v2, v[11:14], s[34:35] offset:24 glc
	s_waitcnt vmcnt(0)
	v_cmp_eq_u64_e32 vcc, v[11:12], v[13:14]
	v_mov_b32_e32 v14, v12
	s_or_b64 s[52:53], vcc, s[52:53]
	v_mov_b32_e32 v13, v11
	s_andn2_b64 exec, exec, s[52:53]
	s_cbranch_execnz .LBB5_676
	s_branch .LBB5_594
.LBB5_677:                              ;   in Loop: Header=BB5_280 Depth=1
	s_branch .LBB5_706
.LBB5_678:                              ;   in Loop: Header=BB5_280 Depth=1
                                        ; implicit-def: $vgpr9_vgpr10
	s_cbranch_execz .LBB5_706
; %bb.679:                              ;   in Loop: Header=BB5_280 Depth=1
	v_readfirstlane_b32 s4, v45
	v_mov_b32_e32 v3, 0
	v_mov_b32_e32 v4, 0
	v_cmp_eq_u32_e64 s[4:5], s4, v45
	s_and_saveexec_b64 s[24:25], s[4:5]
	s_cbranch_execz .LBB5_685
; %bb.680:                              ;   in Loop: Header=BB5_280 Depth=1
	global_load_dwordx2 v[11:12], v2, s[34:35] offset:24 glc
	s_waitcnt vmcnt(0)
	buffer_wbinvl1_vol
	global_load_dwordx2 v[3:4], v2, s[34:35] offset:40
	global_load_dwordx2 v[9:10], v2, s[34:35]
	s_waitcnt vmcnt(1)
	v_and_b32_e32 v1, v3, v11
	v_and_b32_e32 v3, v4, v12
	v_mul_lo_u32 v3, v3, 24
	v_mul_hi_u32 v4, v1, 24
	v_mul_lo_u32 v1, v1, 24
	v_add_u32_e32 v4, v4, v3
	s_waitcnt vmcnt(0)
	v_add_co_u32_e32 v3, vcc, v9, v1
	v_addc_co_u32_e32 v4, vcc, v10, v4, vcc
	global_load_dwordx2 v[9:10], v[3:4], off glc
	s_waitcnt vmcnt(0)
	global_atomic_cmpswap_x2 v[3:4], v2, v[9:12], s[34:35] offset:24 glc
	s_waitcnt vmcnt(0)
	buffer_wbinvl1_vol
	v_cmp_ne_u64_e32 vcc, v[3:4], v[11:12]
	s_and_saveexec_b64 s[28:29], vcc
	s_cbranch_execz .LBB5_684
; %bb.681:                              ;   in Loop: Header=BB5_280 Depth=1
	s_mov_b64 s[30:31], 0
.LBB5_682:                              ;   Parent Loop BB5_280 Depth=1
                                        ; =>  This Inner Loop Header: Depth=2
	s_sleep 1
	global_load_dwordx2 v[9:10], v2, s[34:35] offset:40
	global_load_dwordx2 v[13:14], v2, s[34:35]
	v_mov_b32_e32 v12, v4
	v_mov_b32_e32 v11, v3
	s_waitcnt vmcnt(1)
	v_and_b32_e32 v1, v9, v11
	s_waitcnt vmcnt(0)
	v_mad_u64_u32 v[3:4], s[52:53], v1, 24, v[13:14]
	v_and_b32_e32 v9, v10, v12
	v_mov_b32_e32 v1, v4
	v_mad_u64_u32 v[9:10], s[52:53], v9, 24, v[1:2]
	v_mov_b32_e32 v4, v9
	global_load_dwordx2 v[9:10], v[3:4], off glc
	s_waitcnt vmcnt(0)
	global_atomic_cmpswap_x2 v[3:4], v2, v[9:12], s[34:35] offset:24 glc
	s_waitcnt vmcnt(0)
	buffer_wbinvl1_vol
	v_cmp_eq_u64_e32 vcc, v[3:4], v[11:12]
	s_or_b64 s[30:31], vcc, s[30:31]
	s_andn2_b64 exec, exec, s[30:31]
	s_cbranch_execnz .LBB5_682
; %bb.683:                              ;   in Loop: Header=BB5_280 Depth=1
	s_or_b64 exec, exec, s[30:31]
.LBB5_684:                              ;   in Loop: Header=BB5_280 Depth=1
	s_or_b64 exec, exec, s[28:29]
.LBB5_685:                              ;   in Loop: Header=BB5_280 Depth=1
	s_or_b64 exec, exec, s[24:25]
	global_load_dwordx2 v[9:10], v2, s[34:35] offset:40
	global_load_dwordx4 v[11:14], v2, s[34:35]
	v_readfirstlane_b32 s25, v4
	v_readfirstlane_b32 s24, v3
	s_mov_b64 s[28:29], exec
	s_waitcnt vmcnt(1)
	v_readfirstlane_b32 s30, v9
	v_readfirstlane_b32 s31, v10
	s_and_b64 s[30:31], s[30:31], s[24:25]
	s_mul_i32 s52, s31, 24
	s_mul_hi_u32 s53, s30, 24
	s_mul_i32 s54, s30, 24
	s_add_i32 s52, s53, s52
	v_mov_b32_e32 v1, s52
	s_waitcnt vmcnt(0)
	v_add_co_u32_e32 v15, vcc, s54, v11
	v_addc_co_u32_e32 v16, vcc, v12, v1, vcc
	s_and_saveexec_b64 s[52:53], s[4:5]
	s_cbranch_execz .LBB5_687
; %bb.686:                              ;   in Loop: Header=BB5_280 Depth=1
	v_mov_b32_e32 v3, s28
	v_mov_b32_e32 v4, s29
	global_store_dwordx4 v[15:16], v[3:6], off offset:8
.LBB5_687:                              ;   in Loop: Header=BB5_280 Depth=1
	s_or_b64 exec, exec, s[52:53]
	s_lshl_b64 s[28:29], s[30:31], 12
	v_mov_b32_e32 v1, s29
	v_add_co_u32_e32 v13, vcc, s28, v13
	v_addc_co_u32_e32 v14, vcc, v14, v1, vcc
	v_and_or_b32 v7, v7, s33, 32
	v_mov_b32_e32 v9, v2
	v_mov_b32_e32 v10, v2
	v_readfirstlane_b32 s28, v13
	v_readfirstlane_b32 s29, v14
	s_nop 4
	global_store_dwordx4 v44, v[7:10], s[28:29]
	s_nop 0
	v_mov_b32_e32 v7, s8
	v_mov_b32_e32 v8, s9
	;; [unrolled: 1-line block ×4, first 2 shown]
	global_store_dwordx4 v44, v[7:10], s[28:29] offset:16
	global_store_dwordx4 v44, v[7:10], s[28:29] offset:32
	global_store_dwordx4 v44, v[7:10], s[28:29] offset:48
	s_and_saveexec_b64 s[28:29], s[4:5]
	s_cbranch_execz .LBB5_695
; %bb.688:                              ;   in Loop: Header=BB5_280 Depth=1
	global_load_dwordx2 v[19:20], v2, s[34:35] offset:32 glc
	global_load_dwordx2 v[3:4], v2, s[34:35] offset:40
	v_mov_b32_e32 v17, s24
	v_mov_b32_e32 v18, s25
	s_waitcnt vmcnt(0)
	v_readfirstlane_b32 s30, v3
	v_readfirstlane_b32 s31, v4
	s_and_b64 s[30:31], s[30:31], s[24:25]
	s_mul_i32 s31, s31, 24
	s_mul_hi_u32 s52, s30, 24
	s_mul_i32 s30, s30, 24
	s_add_i32 s31, s52, s31
	v_mov_b32_e32 v1, s31
	v_add_co_u32_e32 v3, vcc, s30, v11
	v_addc_co_u32_e32 v4, vcc, v12, v1, vcc
	global_store_dwordx2 v[3:4], v[19:20], off
	s_waitcnt vmcnt(0)
	global_atomic_cmpswap_x2 v[9:10], v2, v[17:20], s[34:35] offset:32 glc
	s_waitcnt vmcnt(0)
	v_cmp_ne_u64_e32 vcc, v[9:10], v[19:20]
	s_and_saveexec_b64 s[30:31], vcc
	s_cbranch_execz .LBB5_691
; %bb.689:                              ;   in Loop: Header=BB5_280 Depth=1
	s_mov_b64 s[52:53], 0
.LBB5_690:                              ;   Parent Loop BB5_280 Depth=1
                                        ; =>  This Inner Loop Header: Depth=2
	s_sleep 1
	global_store_dwordx2 v[3:4], v[9:10], off
	v_mov_b32_e32 v7, s24
	v_mov_b32_e32 v8, s25
	s_waitcnt vmcnt(0)
	global_atomic_cmpswap_x2 v[7:8], v2, v[7:10], s[34:35] offset:32 glc
	s_waitcnt vmcnt(0)
	v_cmp_eq_u64_e32 vcc, v[7:8], v[9:10]
	v_mov_b32_e32 v10, v8
	s_or_b64 s[52:53], vcc, s[52:53]
	v_mov_b32_e32 v9, v7
	s_andn2_b64 exec, exec, s[52:53]
	s_cbranch_execnz .LBB5_690
.LBB5_691:                              ;   in Loop: Header=BB5_280 Depth=1
	s_or_b64 exec, exec, s[30:31]
	global_load_dwordx2 v[3:4], v2, s[34:35] offset:16
	s_mov_b64 s[52:53], exec
	v_mbcnt_lo_u32_b32 v1, s52, 0
	v_mbcnt_hi_u32_b32 v1, s53, v1
	v_cmp_eq_u32_e32 vcc, 0, v1
	s_and_saveexec_b64 s[30:31], vcc
	s_cbranch_execz .LBB5_693
; %bb.692:                              ;   in Loop: Header=BB5_280 Depth=1
	s_bcnt1_i32_b64 s52, s[52:53]
	v_mov_b32_e32 v1, s52
	s_waitcnt vmcnt(0)
	global_atomic_add_x2 v[3:4], v[1:2], off offset:8
.LBB5_693:                              ;   in Loop: Header=BB5_280 Depth=1
	s_or_b64 exec, exec, s[30:31]
	s_waitcnt vmcnt(0)
	global_load_dwordx2 v[7:8], v[3:4], off offset:16
	s_waitcnt vmcnt(0)
	v_cmp_eq_u64_e32 vcc, 0, v[7:8]
	s_cbranch_vccnz .LBB5_695
; %bb.694:                              ;   in Loop: Header=BB5_280 Depth=1
	global_load_dword v1, v[3:4], off offset:24
	s_waitcnt vmcnt(0)
	v_readfirstlane_b32 s30, v1
	s_and_b32 m0, s30, 0xffffff
	global_store_dwordx2 v[7:8], v[1:2], off
	s_sendmsg sendmsg(MSG_INTERRUPT)
.LBB5_695:                              ;   in Loop: Header=BB5_280 Depth=1
	s_or_b64 exec, exec, s[28:29]
	v_add_co_u32_e32 v3, vcc, v13, v44
	v_addc_co_u32_e32 v4, vcc, 0, v14, vcc
	s_branch .LBB5_699
.LBB5_696:                              ;   in Loop: Header=BB5_699 Depth=2
	s_or_b64 exec, exec, s[28:29]
	v_readfirstlane_b32 s28, v1
	s_cmp_eq_u32 s28, 0
	s_cbranch_scc1 .LBB5_698
; %bb.697:                              ;   in Loop: Header=BB5_699 Depth=2
	s_sleep 1
	s_cbranch_execnz .LBB5_699
	s_branch .LBB5_701
.LBB5_698:                              ;   in Loop: Header=BB5_280 Depth=1
	s_branch .LBB5_701
.LBB5_699:                              ;   Parent Loop BB5_280 Depth=1
                                        ; =>  This Inner Loop Header: Depth=2
	v_mov_b32_e32 v1, 1
	s_and_saveexec_b64 s[28:29], s[4:5]
	s_cbranch_execz .LBB5_696
; %bb.700:                              ;   in Loop: Header=BB5_699 Depth=2
	global_load_dword v1, v[15:16], off offset:20 glc
	s_waitcnt vmcnt(0)
	buffer_wbinvl1_vol
	v_and_b32_e32 v1, 1, v1
	s_branch .LBB5_696
.LBB5_701:                              ;   in Loop: Header=BB5_280 Depth=1
	global_load_dwordx2 v[9:10], v[3:4], off
	s_and_saveexec_b64 s[28:29], s[4:5]
	s_cbranch_execz .LBB5_705
; %bb.702:                              ;   in Loop: Header=BB5_280 Depth=1
	global_load_dwordx2 v[3:4], v2, s[34:35] offset:40
	global_load_dwordx2 v[15:16], v2, s[34:35] offset:24 glc
	global_load_dwordx2 v[7:8], v2, s[34:35]
	s_waitcnt vmcnt(2)
	v_readfirstlane_b32 s30, v3
	v_readfirstlane_b32 s31, v4
	s_add_u32 s52, s30, 1
	s_addc_u32 s53, s31, 0
	s_add_u32 s4, s52, s24
	s_addc_u32 s5, s53, s25
	s_cmp_eq_u64 s[4:5], 0
	s_cselect_b32 s5, s53, s5
	s_cselect_b32 s4, s52, s4
	s_and_b64 s[24:25], s[4:5], s[30:31]
	s_mul_i32 s25, s25, 24
	s_mul_hi_u32 s30, s24, 24
	s_mul_i32 s24, s24, 24
	s_add_i32 s25, s30, s25
	v_mov_b32_e32 v1, s25
	s_waitcnt vmcnt(0)
	v_add_co_u32_e32 v3, vcc, s24, v7
	v_addc_co_u32_e32 v4, vcc, v8, v1, vcc
	v_mov_b32_e32 v13, s4
	global_store_dwordx2 v[3:4], v[15:16], off
	v_mov_b32_e32 v14, s5
	s_waitcnt vmcnt(0)
	global_atomic_cmpswap_x2 v[13:14], v2, v[13:16], s[34:35] offset:24 glc
	s_waitcnt vmcnt(0)
	v_cmp_ne_u64_e32 vcc, v[13:14], v[15:16]
	s_and_b64 exec, exec, vcc
	s_cbranch_execz .LBB5_705
; %bb.703:                              ;   in Loop: Header=BB5_280 Depth=1
	s_mov_b64 s[24:25], 0
.LBB5_704:                              ;   Parent Loop BB5_280 Depth=1
                                        ; =>  This Inner Loop Header: Depth=2
	s_sleep 1
	global_store_dwordx2 v[3:4], v[13:14], off
	v_mov_b32_e32 v11, s4
	v_mov_b32_e32 v12, s5
	s_waitcnt vmcnt(0)
	global_atomic_cmpswap_x2 v[7:8], v2, v[11:14], s[34:35] offset:24 glc
	s_waitcnt vmcnt(0)
	v_cmp_eq_u64_e32 vcc, v[7:8], v[13:14]
	v_mov_b32_e32 v14, v8
	s_or_b64 s[24:25], vcc, s[24:25]
	v_mov_b32_e32 v13, v7
	s_andn2_b64 exec, exec, s[24:25]
	s_cbranch_execnz .LBB5_704
.LBB5_705:                              ;   in Loop: Header=BB5_280 Depth=1
	s_or_b64 exec, exec, s[28:29]
.LBB5_706:                              ;   in Loop: Header=BB5_280 Depth=1
	v_readfirstlane_b32 s4, v45
	v_mov_b32_e32 v3, 0
	v_mov_b32_e32 v4, 0
	v_cmp_eq_u32_e64 s[4:5], s4, v45
	s_and_saveexec_b64 s[24:25], s[4:5]
	s_cbranch_execz .LBB5_712
; %bb.707:                              ;   in Loop: Header=BB5_280 Depth=1
	global_load_dwordx2 v[13:14], v2, s[34:35] offset:24 glc
	s_waitcnt vmcnt(0)
	buffer_wbinvl1_vol
	global_load_dwordx2 v[3:4], v2, s[34:35] offset:40
	global_load_dwordx2 v[7:8], v2, s[34:35]
	s_waitcnt vmcnt(1)
	v_and_b32_e32 v1, v3, v13
	v_and_b32_e32 v3, v4, v14
	v_mul_lo_u32 v3, v3, 24
	v_mul_hi_u32 v4, v1, 24
	v_mul_lo_u32 v1, v1, 24
	v_add_u32_e32 v4, v4, v3
	s_waitcnt vmcnt(0)
	v_add_co_u32_e32 v3, vcc, v7, v1
	v_addc_co_u32_e32 v4, vcc, v8, v4, vcc
	global_load_dwordx2 v[11:12], v[3:4], off glc
	s_waitcnt vmcnt(0)
	global_atomic_cmpswap_x2 v[3:4], v2, v[11:14], s[34:35] offset:24 glc
	s_waitcnt vmcnt(0)
	buffer_wbinvl1_vol
	v_cmp_ne_u64_e32 vcc, v[3:4], v[13:14]
	s_and_saveexec_b64 s[28:29], vcc
	s_cbranch_execz .LBB5_711
; %bb.708:                              ;   in Loop: Header=BB5_280 Depth=1
	s_mov_b64 s[30:31], 0
.LBB5_709:                              ;   Parent Loop BB5_280 Depth=1
                                        ; =>  This Inner Loop Header: Depth=2
	s_sleep 1
	global_load_dwordx2 v[7:8], v2, s[34:35] offset:40
	global_load_dwordx2 v[11:12], v2, s[34:35]
	v_mov_b32_e32 v14, v4
	v_mov_b32_e32 v13, v3
	s_waitcnt vmcnt(1)
	v_and_b32_e32 v1, v7, v13
	s_waitcnt vmcnt(0)
	v_mad_u64_u32 v[3:4], s[52:53], v1, 24, v[11:12]
	v_and_b32_e32 v7, v8, v14
	v_mov_b32_e32 v1, v4
	v_mad_u64_u32 v[7:8], s[52:53], v7, 24, v[1:2]
	v_mov_b32_e32 v4, v7
	global_load_dwordx2 v[11:12], v[3:4], off glc
	s_waitcnt vmcnt(0)
	global_atomic_cmpswap_x2 v[3:4], v2, v[11:14], s[34:35] offset:24 glc
	s_waitcnt vmcnt(0)
	buffer_wbinvl1_vol
	v_cmp_eq_u64_e32 vcc, v[3:4], v[13:14]
	s_or_b64 s[30:31], vcc, s[30:31]
	s_andn2_b64 exec, exec, s[30:31]
	s_cbranch_execnz .LBB5_709
; %bb.710:                              ;   in Loop: Header=BB5_280 Depth=1
	s_or_b64 exec, exec, s[30:31]
.LBB5_711:                              ;   in Loop: Header=BB5_280 Depth=1
	s_or_b64 exec, exec, s[28:29]
.LBB5_712:                              ;   in Loop: Header=BB5_280 Depth=1
	s_or_b64 exec, exec, s[24:25]
	global_load_dwordx2 v[7:8], v2, s[34:35] offset:40
	global_load_dwordx4 v[13:16], v2, s[34:35]
	v_readfirstlane_b32 s25, v4
	v_readfirstlane_b32 s24, v3
	s_mov_b64 s[28:29], exec
	s_waitcnt vmcnt(1)
	v_readfirstlane_b32 s30, v7
	v_readfirstlane_b32 s31, v8
	s_and_b64 s[30:31], s[30:31], s[24:25]
	s_mul_i32 s52, s31, 24
	s_mul_hi_u32 s53, s30, 24
	s_mul_i32 s54, s30, 24
	s_add_i32 s52, s53, s52
	v_mov_b32_e32 v1, s52
	s_waitcnt vmcnt(0)
	v_add_co_u32_e32 v17, vcc, s54, v13
	v_addc_co_u32_e32 v18, vcc, v14, v1, vcc
	s_and_saveexec_b64 s[52:53], s[4:5]
	s_cbranch_execz .LBB5_714
; %bb.713:                              ;   in Loop: Header=BB5_280 Depth=1
	v_mov_b32_e32 v3, s28
	v_mov_b32_e32 v4, s29
	global_store_dwordx4 v[17:18], v[3:6], off offset:8
.LBB5_714:                              ;   in Loop: Header=BB5_280 Depth=1
	s_or_b64 exec, exec, s[52:53]
	s_lshl_b64 s[28:29], s[30:31], 12
	v_mov_b32_e32 v1, s29
	v_add_co_u32_e32 v3, vcc, s28, v15
	v_addc_co_u32_e32 v1, vcc, v16, v1, vcc
	s_ashr_i32 s28, s61, 1
	v_and_or_b32 v9, v9, s60, 34
	v_mov_b32_e32 v11, s28
	v_mov_b32_e32 v12, v2
	v_readfirstlane_b32 s28, v3
	v_readfirstlane_b32 s29, v1
	s_nop 4
	global_store_dwordx4 v44, v[9:12], s[28:29]
	v_mov_b32_e32 v7, s8
	v_mov_b32_e32 v8, s9
	;; [unrolled: 1-line block ×4, first 2 shown]
	global_store_dwordx4 v44, v[7:10], s[28:29] offset:16
	global_store_dwordx4 v44, v[7:10], s[28:29] offset:32
	;; [unrolled: 1-line block ×3, first 2 shown]
	s_and_saveexec_b64 s[28:29], s[4:5]
	s_cbranch_execz .LBB5_722
; %bb.715:                              ;   in Loop: Header=BB5_280 Depth=1
	global_load_dwordx2 v[11:12], v2, s[34:35] offset:32 glc
	global_load_dwordx2 v[3:4], v2, s[34:35] offset:40
	v_mov_b32_e32 v9, s24
	v_mov_b32_e32 v10, s25
	s_waitcnt vmcnt(0)
	v_readfirstlane_b32 s30, v3
	v_readfirstlane_b32 s31, v4
	s_and_b64 s[30:31], s[30:31], s[24:25]
	s_mul_i32 s31, s31, 24
	s_mul_hi_u32 s52, s30, 24
	s_mul_i32 s30, s30, 24
	s_add_i32 s31, s52, s31
	v_mov_b32_e32 v1, s31
	v_add_co_u32_e32 v3, vcc, s30, v13
	v_addc_co_u32_e32 v4, vcc, v14, v1, vcc
	global_store_dwordx2 v[3:4], v[11:12], off
	s_waitcnt vmcnt(0)
	global_atomic_cmpswap_x2 v[9:10], v2, v[9:12], s[34:35] offset:32 glc
	s_waitcnt vmcnt(0)
	v_cmp_ne_u64_e32 vcc, v[9:10], v[11:12]
	s_and_saveexec_b64 s[30:31], vcc
	s_cbranch_execz .LBB5_718
; %bb.716:                              ;   in Loop: Header=BB5_280 Depth=1
	s_mov_b64 s[52:53], 0
.LBB5_717:                              ;   Parent Loop BB5_280 Depth=1
                                        ; =>  This Inner Loop Header: Depth=2
	s_sleep 1
	global_store_dwordx2 v[3:4], v[9:10], off
	v_mov_b32_e32 v7, s24
	v_mov_b32_e32 v8, s25
	s_waitcnt vmcnt(0)
	global_atomic_cmpswap_x2 v[7:8], v2, v[7:10], s[34:35] offset:32 glc
	s_waitcnt vmcnt(0)
	v_cmp_eq_u64_e32 vcc, v[7:8], v[9:10]
	v_mov_b32_e32 v10, v8
	s_or_b64 s[52:53], vcc, s[52:53]
	v_mov_b32_e32 v9, v7
	s_andn2_b64 exec, exec, s[52:53]
	s_cbranch_execnz .LBB5_717
.LBB5_718:                              ;   in Loop: Header=BB5_280 Depth=1
	s_or_b64 exec, exec, s[30:31]
	global_load_dwordx2 v[3:4], v2, s[34:35] offset:16
	s_mov_b64 s[52:53], exec
	v_mbcnt_lo_u32_b32 v1, s52, 0
	v_mbcnt_hi_u32_b32 v1, s53, v1
	v_cmp_eq_u32_e32 vcc, 0, v1
	s_and_saveexec_b64 s[30:31], vcc
	s_cbranch_execz .LBB5_720
; %bb.719:                              ;   in Loop: Header=BB5_280 Depth=1
	s_bcnt1_i32_b64 s52, s[52:53]
	v_mov_b32_e32 v1, s52
	s_waitcnt vmcnt(0)
	global_atomic_add_x2 v[3:4], v[1:2], off offset:8
.LBB5_720:                              ;   in Loop: Header=BB5_280 Depth=1
	s_or_b64 exec, exec, s[30:31]
	s_waitcnt vmcnt(0)
	global_load_dwordx2 v[7:8], v[3:4], off offset:16
	s_waitcnt vmcnt(0)
	v_cmp_eq_u64_e32 vcc, 0, v[7:8]
	s_cbranch_vccnz .LBB5_722
; %bb.721:                              ;   in Loop: Header=BB5_280 Depth=1
	global_load_dword v1, v[3:4], off offset:24
	s_waitcnt vmcnt(0)
	v_readfirstlane_b32 s30, v1
	s_and_b32 m0, s30, 0xffffff
	global_store_dwordx2 v[7:8], v[1:2], off
	s_sendmsg sendmsg(MSG_INTERRUPT)
.LBB5_722:                              ;   in Loop: Header=BB5_280 Depth=1
	s_or_b64 exec, exec, s[28:29]
	s_branch .LBB5_726
.LBB5_723:                              ;   in Loop: Header=BB5_726 Depth=2
	s_or_b64 exec, exec, s[28:29]
	v_readfirstlane_b32 s28, v1
	s_cmp_eq_u32 s28, 0
	s_cbranch_scc1 .LBB5_725
; %bb.724:                              ;   in Loop: Header=BB5_726 Depth=2
	s_sleep 1
	s_cbranch_execnz .LBB5_726
	s_branch .LBB5_728
.LBB5_725:                              ;   in Loop: Header=BB5_280 Depth=1
	s_branch .LBB5_728
.LBB5_726:                              ;   Parent Loop BB5_280 Depth=1
                                        ; =>  This Inner Loop Header: Depth=2
	v_mov_b32_e32 v1, 1
	s_and_saveexec_b64 s[28:29], s[4:5]
	s_cbranch_execz .LBB5_723
; %bb.727:                              ;   in Loop: Header=BB5_726 Depth=2
	global_load_dword v1, v[17:18], off offset:20 glc
	s_waitcnt vmcnt(0)
	buffer_wbinvl1_vol
	v_and_b32_e32 v1, 1, v1
	s_branch .LBB5_723
.LBB5_728:                              ;   in Loop: Header=BB5_280 Depth=1
	s_and_saveexec_b64 s[28:29], s[4:5]
	s_cbranch_execz .LBB5_732
; %bb.729:                              ;   in Loop: Header=BB5_280 Depth=1
	global_load_dwordx2 v[3:4], v2, s[34:35] offset:40
	global_load_dwordx2 v[11:12], v2, s[34:35] offset:24 glc
	global_load_dwordx2 v[7:8], v2, s[34:35]
	s_waitcnt vmcnt(2)
	v_readfirstlane_b32 s30, v3
	v_readfirstlane_b32 s31, v4
	s_add_u32 s52, s30, 1
	s_addc_u32 s53, s31, 0
	s_add_u32 s4, s52, s24
	s_addc_u32 s5, s53, s25
	s_cmp_eq_u64 s[4:5], 0
	s_cselect_b32 s5, s53, s5
	s_cselect_b32 s4, s52, s4
	s_and_b64 s[24:25], s[4:5], s[30:31]
	s_mul_i32 s25, s25, 24
	s_mul_hi_u32 s30, s24, 24
	s_mul_i32 s24, s24, 24
	s_add_i32 s25, s30, s25
	v_mov_b32_e32 v1, s25
	s_waitcnt vmcnt(0)
	v_add_co_u32_e32 v3, vcc, s24, v7
	v_addc_co_u32_e32 v4, vcc, v8, v1, vcc
	v_mov_b32_e32 v9, s4
	global_store_dwordx2 v[3:4], v[11:12], off
	v_mov_b32_e32 v10, s5
	s_waitcnt vmcnt(0)
	global_atomic_cmpswap_x2 v[9:10], v2, v[9:12], s[34:35] offset:24 glc
	s_waitcnt vmcnt(0)
	v_cmp_ne_u64_e32 vcc, v[9:10], v[11:12]
	s_and_b64 exec, exec, vcc
	s_cbranch_execz .LBB5_732
; %bb.730:                              ;   in Loop: Header=BB5_280 Depth=1
	s_mov_b64 s[24:25], 0
.LBB5_731:                              ;   Parent Loop BB5_280 Depth=1
                                        ; =>  This Inner Loop Header: Depth=2
	s_sleep 1
	global_store_dwordx2 v[3:4], v[9:10], off
	v_mov_b32_e32 v7, s4
	v_mov_b32_e32 v8, s5
	s_waitcnt vmcnt(0)
	global_atomic_cmpswap_x2 v[7:8], v2, v[7:10], s[34:35] offset:24 glc
	s_waitcnt vmcnt(0)
	v_cmp_eq_u64_e32 vcc, v[7:8], v[9:10]
	v_mov_b32_e32 v10, v8
	s_or_b64 s[24:25], vcc, s[24:25]
	v_mov_b32_e32 v9, v7
	s_andn2_b64 exec, exec, s[24:25]
	s_cbranch_execnz .LBB5_731
.LBB5_732:                              ;   in Loop: Header=BB5_280 Depth=1
	s_or_b64 exec, exec, s[28:29]
	s_branch .LBB5_873
.LBB5_733:                              ;   in Loop: Header=BB5_280 Depth=1
	v_readfirstlane_b32 s4, v45
	v_mov_b32_e32 v3, 0
	v_mov_b32_e32 v4, 0
	v_cmp_eq_u32_e64 s[4:5], s4, v45
	s_and_saveexec_b64 s[24:25], s[4:5]
	s_cbranch_execz .LBB5_739
; %bb.734:                              ;   in Loop: Header=BB5_280 Depth=1
	global_load_dwordx2 v[9:10], v2, s[34:35] offset:24 glc
	s_waitcnt vmcnt(0)
	buffer_wbinvl1_vol
	global_load_dwordx2 v[3:4], v2, s[34:35] offset:40
	global_load_dwordx2 v[7:8], v2, s[34:35]
	s_waitcnt vmcnt(1)
	v_and_b32_e32 v1, v3, v9
	v_and_b32_e32 v3, v4, v10
	v_mul_lo_u32 v3, v3, 24
	v_mul_hi_u32 v4, v1, 24
	v_mul_lo_u32 v1, v1, 24
	v_add_u32_e32 v4, v4, v3
	s_waitcnt vmcnt(0)
	v_add_co_u32_e32 v3, vcc, v7, v1
	v_addc_co_u32_e32 v4, vcc, v8, v4, vcc
	global_load_dwordx2 v[7:8], v[3:4], off glc
	s_waitcnt vmcnt(0)
	global_atomic_cmpswap_x2 v[3:4], v2, v[7:10], s[34:35] offset:24 glc
	s_waitcnt vmcnt(0)
	buffer_wbinvl1_vol
	v_cmp_ne_u64_e32 vcc, v[3:4], v[9:10]
	s_and_saveexec_b64 s[28:29], vcc
	s_cbranch_execz .LBB5_738
; %bb.735:                              ;   in Loop: Header=BB5_280 Depth=1
	s_mov_b64 s[30:31], 0
.LBB5_736:                              ;   Parent Loop BB5_280 Depth=1
                                        ; =>  This Inner Loop Header: Depth=2
	s_sleep 1
	global_load_dwordx2 v[7:8], v2, s[34:35] offset:40
	global_load_dwordx2 v[11:12], v2, s[34:35]
	v_mov_b32_e32 v10, v4
	v_mov_b32_e32 v9, v3
	s_waitcnt vmcnt(1)
	v_and_b32_e32 v1, v7, v9
	s_waitcnt vmcnt(0)
	v_mad_u64_u32 v[3:4], s[52:53], v1, 24, v[11:12]
	v_and_b32_e32 v7, v8, v10
	v_mov_b32_e32 v1, v4
	v_mad_u64_u32 v[7:8], s[52:53], v7, 24, v[1:2]
	v_mov_b32_e32 v4, v7
	global_load_dwordx2 v[7:8], v[3:4], off glc
	s_waitcnt vmcnt(0)
	global_atomic_cmpswap_x2 v[3:4], v2, v[7:10], s[34:35] offset:24 glc
	s_waitcnt vmcnt(0)
	buffer_wbinvl1_vol
	v_cmp_eq_u64_e32 vcc, v[3:4], v[9:10]
	s_or_b64 s[30:31], vcc, s[30:31]
	s_andn2_b64 exec, exec, s[30:31]
	s_cbranch_execnz .LBB5_736
; %bb.737:                              ;   in Loop: Header=BB5_280 Depth=1
	s_or_b64 exec, exec, s[30:31]
.LBB5_738:                              ;   in Loop: Header=BB5_280 Depth=1
	s_or_b64 exec, exec, s[28:29]
.LBB5_739:                              ;   in Loop: Header=BB5_280 Depth=1
	s_or_b64 exec, exec, s[24:25]
	global_load_dwordx2 v[11:12], v2, s[34:35] offset:40
	global_load_dwordx4 v[7:10], v2, s[34:35]
	v_readfirstlane_b32 s25, v4
	v_readfirstlane_b32 s24, v3
	s_mov_b64 s[28:29], exec
	s_waitcnt vmcnt(1)
	v_readfirstlane_b32 s30, v11
	v_readfirstlane_b32 s31, v12
	s_and_b64 s[30:31], s[30:31], s[24:25]
	s_mul_i32 s52, s31, 24
	s_mul_hi_u32 s53, s30, 24
	s_mul_i32 s54, s30, 24
	s_add_i32 s52, s53, s52
	v_mov_b32_e32 v1, s52
	s_waitcnt vmcnt(0)
	v_add_co_u32_e32 v11, vcc, s54, v7
	v_addc_co_u32_e32 v12, vcc, v8, v1, vcc
	s_and_saveexec_b64 s[52:53], s[4:5]
	s_cbranch_execz .LBB5_741
; %bb.740:                              ;   in Loop: Header=BB5_280 Depth=1
	v_mov_b32_e32 v3, s28
	v_mov_b32_e32 v4, s29
	global_store_dwordx4 v[11:12], v[3:6], off offset:8
.LBB5_741:                              ;   in Loop: Header=BB5_280 Depth=1
	s_or_b64 exec, exec, s[52:53]
	s_lshl_b64 s[28:29], s[30:31], 12
	v_mov_b32_e32 v1, s29
	v_add_co_u32_e32 v13, vcc, s28, v9
	v_addc_co_u32_e32 v14, vcc, v10, v1, vcc
	v_mov_b32_e32 v18, s11
	v_mov_b32_e32 v1, v2
	;; [unrolled: 1-line block ×3, first 2 shown]
	v_readfirstlane_b32 s28, v13
	v_readfirstlane_b32 s29, v14
	v_mov_b32_e32 v17, s10
	v_mov_b32_e32 v16, s9
	;; [unrolled: 1-line block ×3, first 2 shown]
	s_nop 1
	global_store_dwordx4 v44, v[0:3], s[28:29]
	global_store_dwordx4 v44, v[15:18], s[28:29] offset:16
	global_store_dwordx4 v44, v[15:18], s[28:29] offset:32
	;; [unrolled: 1-line block ×3, first 2 shown]
	s_and_saveexec_b64 s[28:29], s[4:5]
	s_cbranch_execz .LBB5_749
; %bb.742:                              ;   in Loop: Header=BB5_280 Depth=1
	global_load_dwordx2 v[17:18], v2, s[34:35] offset:32 glc
	global_load_dwordx2 v[3:4], v2, s[34:35] offset:40
	v_mov_b32_e32 v15, s24
	v_mov_b32_e32 v16, s25
	s_waitcnt vmcnt(0)
	v_readfirstlane_b32 s30, v3
	v_readfirstlane_b32 s31, v4
	s_and_b64 s[30:31], s[30:31], s[24:25]
	s_mul_i32 s31, s31, 24
	s_mul_hi_u32 s52, s30, 24
	s_mul_i32 s30, s30, 24
	s_add_i32 s31, s52, s31
	v_mov_b32_e32 v1, s31
	v_add_co_u32_e32 v3, vcc, s30, v7
	v_addc_co_u32_e32 v4, vcc, v8, v1, vcc
	global_store_dwordx2 v[3:4], v[17:18], off
	s_waitcnt vmcnt(0)
	global_atomic_cmpswap_x2 v[9:10], v2, v[15:18], s[34:35] offset:32 glc
	s_waitcnt vmcnt(0)
	v_cmp_ne_u64_e32 vcc, v[9:10], v[17:18]
	s_and_saveexec_b64 s[30:31], vcc
	s_cbranch_execz .LBB5_745
; %bb.743:                              ;   in Loop: Header=BB5_280 Depth=1
	s_mov_b64 s[52:53], 0
.LBB5_744:                              ;   Parent Loop BB5_280 Depth=1
                                        ; =>  This Inner Loop Header: Depth=2
	s_sleep 1
	global_store_dwordx2 v[3:4], v[9:10], off
	v_mov_b32_e32 v7, s24
	v_mov_b32_e32 v8, s25
	s_waitcnt vmcnt(0)
	global_atomic_cmpswap_x2 v[7:8], v2, v[7:10], s[34:35] offset:32 glc
	s_waitcnt vmcnt(0)
	v_cmp_eq_u64_e32 vcc, v[7:8], v[9:10]
	v_mov_b32_e32 v10, v8
	s_or_b64 s[52:53], vcc, s[52:53]
	v_mov_b32_e32 v9, v7
	s_andn2_b64 exec, exec, s[52:53]
	s_cbranch_execnz .LBB5_744
.LBB5_745:                              ;   in Loop: Header=BB5_280 Depth=1
	s_or_b64 exec, exec, s[30:31]
	global_load_dwordx2 v[3:4], v2, s[34:35] offset:16
	s_mov_b64 s[52:53], exec
	v_mbcnt_lo_u32_b32 v1, s52, 0
	v_mbcnt_hi_u32_b32 v1, s53, v1
	v_cmp_eq_u32_e32 vcc, 0, v1
	s_and_saveexec_b64 s[30:31], vcc
	s_cbranch_execz .LBB5_747
; %bb.746:                              ;   in Loop: Header=BB5_280 Depth=1
	s_bcnt1_i32_b64 s52, s[52:53]
	v_mov_b32_e32 v1, s52
	s_waitcnt vmcnt(0)
	global_atomic_add_x2 v[3:4], v[1:2], off offset:8
.LBB5_747:                              ;   in Loop: Header=BB5_280 Depth=1
	s_or_b64 exec, exec, s[30:31]
	s_waitcnt vmcnt(0)
	global_load_dwordx2 v[7:8], v[3:4], off offset:16
	s_waitcnt vmcnt(0)
	v_cmp_eq_u64_e32 vcc, 0, v[7:8]
	s_cbranch_vccnz .LBB5_749
; %bb.748:                              ;   in Loop: Header=BB5_280 Depth=1
	global_load_dword v1, v[3:4], off offset:24
	s_waitcnt vmcnt(0)
	v_readfirstlane_b32 s30, v1
	s_and_b32 m0, s30, 0xffffff
	global_store_dwordx2 v[7:8], v[1:2], off
	s_sendmsg sendmsg(MSG_INTERRUPT)
.LBB5_749:                              ;   in Loop: Header=BB5_280 Depth=1
	s_or_b64 exec, exec, s[28:29]
	v_add_co_u32_e32 v3, vcc, v13, v44
	v_addc_co_u32_e32 v4, vcc, 0, v14, vcc
	s_branch .LBB5_753
.LBB5_750:                              ;   in Loop: Header=BB5_753 Depth=2
	s_or_b64 exec, exec, s[28:29]
	v_readfirstlane_b32 s28, v1
	s_cmp_eq_u32 s28, 0
	s_cbranch_scc1 .LBB5_752
; %bb.751:                              ;   in Loop: Header=BB5_753 Depth=2
	s_sleep 1
	s_cbranch_execnz .LBB5_753
	s_branch .LBB5_755
.LBB5_752:                              ;   in Loop: Header=BB5_280 Depth=1
	s_branch .LBB5_755
.LBB5_753:                              ;   Parent Loop BB5_280 Depth=1
                                        ; =>  This Inner Loop Header: Depth=2
	v_mov_b32_e32 v1, 1
	s_and_saveexec_b64 s[28:29], s[4:5]
	s_cbranch_execz .LBB5_750
; %bb.754:                              ;   in Loop: Header=BB5_753 Depth=2
	global_load_dword v1, v[11:12], off offset:20 glc
	s_waitcnt vmcnt(0)
	buffer_wbinvl1_vol
	v_and_b32_e32 v1, 1, v1
	s_branch .LBB5_750
.LBB5_755:                              ;   in Loop: Header=BB5_280 Depth=1
	global_load_dwordx2 v[7:8], v[3:4], off
	s_and_saveexec_b64 s[28:29], s[4:5]
	s_cbranch_execz .LBB5_759
; %bb.756:                              ;   in Loop: Header=BB5_280 Depth=1
	global_load_dwordx2 v[3:4], v2, s[34:35] offset:40
	global_load_dwordx2 v[13:14], v2, s[34:35] offset:24 glc
	global_load_dwordx2 v[9:10], v2, s[34:35]
	s_waitcnt vmcnt(2)
	v_readfirstlane_b32 s30, v3
	v_readfirstlane_b32 s31, v4
	s_add_u32 s52, s30, 1
	s_addc_u32 s53, s31, 0
	s_add_u32 s4, s52, s24
	s_addc_u32 s5, s53, s25
	s_cmp_eq_u64 s[4:5], 0
	s_cselect_b32 s5, s53, s5
	s_cselect_b32 s4, s52, s4
	s_and_b64 s[24:25], s[4:5], s[30:31]
	s_mul_i32 s25, s25, 24
	s_mul_hi_u32 s30, s24, 24
	s_mul_i32 s24, s24, 24
	s_add_i32 s25, s30, s25
	v_mov_b32_e32 v1, s25
	s_waitcnt vmcnt(0)
	v_add_co_u32_e32 v3, vcc, s24, v9
	v_addc_co_u32_e32 v4, vcc, v10, v1, vcc
	v_mov_b32_e32 v11, s4
	global_store_dwordx2 v[3:4], v[13:14], off
	v_mov_b32_e32 v12, s5
	s_waitcnt vmcnt(0)
	global_atomic_cmpswap_x2 v[11:12], v2, v[11:14], s[34:35] offset:24 glc
	s_waitcnt vmcnt(0)
	v_cmp_ne_u64_e32 vcc, v[11:12], v[13:14]
	s_and_b64 exec, exec, vcc
	s_cbranch_execz .LBB5_759
; %bb.757:                              ;   in Loop: Header=BB5_280 Depth=1
	s_mov_b64 s[24:25], 0
.LBB5_758:                              ;   Parent Loop BB5_280 Depth=1
                                        ; =>  This Inner Loop Header: Depth=2
	s_sleep 1
	global_store_dwordx2 v[3:4], v[11:12], off
	v_mov_b32_e32 v9, s4
	v_mov_b32_e32 v10, s5
	s_waitcnt vmcnt(0)
	global_atomic_cmpswap_x2 v[9:10], v2, v[9:12], s[34:35] offset:24 glc
	s_waitcnt vmcnt(0)
	v_cmp_eq_u64_e32 vcc, v[9:10], v[11:12]
	v_mov_b32_e32 v12, v10
	s_or_b64 s[24:25], vcc, s[24:25]
	v_mov_b32_e32 v11, v9
	s_andn2_b64 exec, exec, s[24:25]
	s_cbranch_execnz .LBB5_758
.LBB5_759:                              ;   in Loop: Header=BB5_280 Depth=1
	s_or_b64 exec, exec, s[28:29]
	s_and_b64 vcc, exec, s[14:15]
	s_cbranch_vccz .LBB5_845
; %bb.760:                              ;   in Loop: Header=BB5_280 Depth=1
	s_waitcnt vmcnt(0)
	v_and_b32_e32 v9, -3, v7
	v_mov_b32_e32 v10, v8
	s_mov_b64 s[28:29], 2
	s_getpc_b64 s[24:25]
	s_add_u32 s24, s24, .str.6@rel32@lo+4
	s_addc_u32 s25, s25, .str.6@rel32@hi+12
	s_branch .LBB5_762
.LBB5_761:                              ;   in Loop: Header=BB5_762 Depth=2
	s_or_b64 exec, exec, s[54:55]
	s_sub_u32 s28, s28, s30
	s_subb_u32 s29, s29, s31
	s_add_u32 s24, s24, s30
	s_addc_u32 s25, s25, s31
	s_cmp_eq_u64 s[28:29], 0
	s_cbranch_scc1 .LBB5_844
.LBB5_762:                              ;   Parent Loop BB5_280 Depth=1
                                        ; =>  This Loop Header: Depth=2
                                        ;       Child Loop BB5_765 Depth 3
                                        ;       Child Loop BB5_773 Depth 3
	;; [unrolled: 1-line block ×11, first 2 shown]
	v_cmp_lt_u64_e64 s[4:5], s[28:29], 56
	v_cmp_gt_u64_e64 s[52:53], s[28:29], 7
	s_and_b64 s[4:5], s[4:5], exec
	s_cselect_b32 s31, s29, 0
	s_cselect_b32 s30, s28, 56
	s_add_u32 s4, s24, 8
	s_addc_u32 s5, s25, 0
	s_and_b64 vcc, exec, s[52:53]
	s_cbranch_vccnz .LBB5_766
; %bb.763:                              ;   in Loop: Header=BB5_762 Depth=2
	s_cmp_eq_u64 s[28:29], 0
	s_cbranch_scc1 .LBB5_767
; %bb.764:                              ;   in Loop: Header=BB5_762 Depth=2
	s_waitcnt vmcnt(0)
	v_mov_b32_e32 v11, 0
	s_lshl_b64 s[4:5], s[30:31], 3
	s_mov_b64 s[52:53], 0
	v_mov_b32_e32 v12, 0
	s_mov_b64 s[54:55], s[24:25]
.LBB5_765:                              ;   Parent Loop BB5_280 Depth=1
                                        ;     Parent Loop BB5_762 Depth=2
                                        ; =>    This Inner Loop Header: Depth=3
	global_load_ubyte v1, v2, s[54:55]
	s_waitcnt vmcnt(0)
	v_and_b32_e32 v1, 0xffff, v1
	v_lshlrev_b64 v[3:4], s52, v[1:2]
	s_add_u32 s52, s52, 8
	s_addc_u32 s53, s53, 0
	s_add_u32 s54, s54, 1
	s_addc_u32 s55, s55, 0
	v_or_b32_e32 v11, v3, v11
	s_cmp_lg_u32 s4, s52
	v_or_b32_e32 v12, v4, v12
	s_cbranch_scc1 .LBB5_765
	s_branch .LBB5_768
.LBB5_766:                              ;   in Loop: Header=BB5_762 Depth=2
	s_mov_b32 s56, 0
	s_branch .LBB5_769
.LBB5_767:                              ;   in Loop: Header=BB5_762 Depth=2
	s_waitcnt vmcnt(0)
	v_mov_b32_e32 v11, 0
	v_mov_b32_e32 v12, 0
.LBB5_768:                              ;   in Loop: Header=BB5_762 Depth=2
	s_mov_b64 s[4:5], s[24:25]
	s_mov_b32 s56, 0
	s_cbranch_execnz .LBB5_770
.LBB5_769:                              ;   in Loop: Header=BB5_762 Depth=2
	global_load_dwordx2 v[11:12], v2, s[24:25]
	s_add_i32 s56, s30, -8
.LBB5_770:                              ;   in Loop: Header=BB5_762 Depth=2
	s_add_u32 s52, s4, 8
	s_addc_u32 s53, s5, 0
	s_cmp_gt_u32 s56, 7
	s_cbranch_scc1 .LBB5_774
; %bb.771:                              ;   in Loop: Header=BB5_762 Depth=2
	s_cmp_eq_u32 s56, 0
	s_cbranch_scc1 .LBB5_775
; %bb.772:                              ;   in Loop: Header=BB5_762 Depth=2
	v_mov_b32_e32 v13, 0
	s_mov_b64 s[52:53], 0
	v_mov_b32_e32 v14, 0
	s_mov_b64 s[54:55], 0
.LBB5_773:                              ;   Parent Loop BB5_280 Depth=1
                                        ;     Parent Loop BB5_762 Depth=2
                                        ; =>    This Inner Loop Header: Depth=3
	s_add_u32 s58, s4, s54
	s_addc_u32 s59, s5, s55
	global_load_ubyte v1, v2, s[58:59]
	s_add_u32 s54, s54, 1
	s_addc_u32 s55, s55, 0
	s_waitcnt vmcnt(0)
	v_and_b32_e32 v1, 0xffff, v1
	v_lshlrev_b64 v[3:4], s52, v[1:2]
	s_add_u32 s52, s52, 8
	s_addc_u32 s53, s53, 0
	v_or_b32_e32 v13, v3, v13
	s_cmp_lg_u32 s56, s54
	v_or_b32_e32 v14, v4, v14
	s_cbranch_scc1 .LBB5_773
	s_branch .LBB5_776
.LBB5_774:                              ;   in Loop: Header=BB5_762 Depth=2
                                        ; implicit-def: $vgpr13_vgpr14
	s_mov_b32 s57, 0
	s_branch .LBB5_777
.LBB5_775:                              ;   in Loop: Header=BB5_762 Depth=2
	v_mov_b32_e32 v13, 0
	v_mov_b32_e32 v14, 0
.LBB5_776:                              ;   in Loop: Header=BB5_762 Depth=2
	s_mov_b64 s[52:53], s[4:5]
	s_mov_b32 s57, 0
	s_cbranch_execnz .LBB5_778
.LBB5_777:                              ;   in Loop: Header=BB5_762 Depth=2
	global_load_dwordx2 v[13:14], v2, s[4:5]
	s_add_i32 s57, s56, -8
.LBB5_778:                              ;   in Loop: Header=BB5_762 Depth=2
	s_add_u32 s4, s52, 8
	s_addc_u32 s5, s53, 0
	s_cmp_gt_u32 s57, 7
	s_cbranch_scc1 .LBB5_782
; %bb.779:                              ;   in Loop: Header=BB5_762 Depth=2
	s_cmp_eq_u32 s57, 0
	s_cbranch_scc1 .LBB5_783
; %bb.780:                              ;   in Loop: Header=BB5_762 Depth=2
	v_mov_b32_e32 v15, 0
	s_mov_b64 s[4:5], 0
	v_mov_b32_e32 v16, 0
	s_mov_b64 s[54:55], 0
.LBB5_781:                              ;   Parent Loop BB5_280 Depth=1
                                        ;     Parent Loop BB5_762 Depth=2
                                        ; =>    This Inner Loop Header: Depth=3
	s_add_u32 s58, s52, s54
	s_addc_u32 s59, s53, s55
	global_load_ubyte v1, v2, s[58:59]
	s_add_u32 s54, s54, 1
	s_addc_u32 s55, s55, 0
	s_waitcnt vmcnt(0)
	v_and_b32_e32 v1, 0xffff, v1
	v_lshlrev_b64 v[3:4], s4, v[1:2]
	s_add_u32 s4, s4, 8
	s_addc_u32 s5, s5, 0
	v_or_b32_e32 v15, v3, v15
	s_cmp_lg_u32 s57, s54
	v_or_b32_e32 v16, v4, v16
	s_cbranch_scc1 .LBB5_781
	s_branch .LBB5_784
.LBB5_782:                              ;   in Loop: Header=BB5_762 Depth=2
	s_mov_b32 s56, 0
	s_branch .LBB5_785
.LBB5_783:                              ;   in Loop: Header=BB5_762 Depth=2
	v_mov_b32_e32 v15, 0
	v_mov_b32_e32 v16, 0
.LBB5_784:                              ;   in Loop: Header=BB5_762 Depth=2
	s_mov_b64 s[4:5], s[52:53]
	s_mov_b32 s56, 0
	s_cbranch_execnz .LBB5_786
.LBB5_785:                              ;   in Loop: Header=BB5_762 Depth=2
	global_load_dwordx2 v[15:16], v2, s[52:53]
	s_add_i32 s56, s57, -8
.LBB5_786:                              ;   in Loop: Header=BB5_762 Depth=2
	s_add_u32 s52, s4, 8
	s_addc_u32 s53, s5, 0
	s_cmp_gt_u32 s56, 7
	s_cbranch_scc1 .LBB5_790
; %bb.787:                              ;   in Loop: Header=BB5_762 Depth=2
	s_cmp_eq_u32 s56, 0
	s_cbranch_scc1 .LBB5_791
; %bb.788:                              ;   in Loop: Header=BB5_762 Depth=2
	v_mov_b32_e32 v17, 0
	s_mov_b64 s[52:53], 0
	v_mov_b32_e32 v18, 0
	s_mov_b64 s[54:55], 0
.LBB5_789:                              ;   Parent Loop BB5_280 Depth=1
                                        ;     Parent Loop BB5_762 Depth=2
                                        ; =>    This Inner Loop Header: Depth=3
	s_add_u32 s58, s4, s54
	s_addc_u32 s59, s5, s55
	global_load_ubyte v1, v2, s[58:59]
	s_add_u32 s54, s54, 1
	s_addc_u32 s55, s55, 0
	s_waitcnt vmcnt(0)
	v_and_b32_e32 v1, 0xffff, v1
	v_lshlrev_b64 v[3:4], s52, v[1:2]
	s_add_u32 s52, s52, 8
	s_addc_u32 s53, s53, 0
	v_or_b32_e32 v17, v3, v17
	s_cmp_lg_u32 s56, s54
	v_or_b32_e32 v18, v4, v18
	s_cbranch_scc1 .LBB5_789
	s_branch .LBB5_792
.LBB5_790:                              ;   in Loop: Header=BB5_762 Depth=2
                                        ; implicit-def: $vgpr17_vgpr18
	s_mov_b32 s57, 0
	s_branch .LBB5_793
.LBB5_791:                              ;   in Loop: Header=BB5_762 Depth=2
	v_mov_b32_e32 v17, 0
	v_mov_b32_e32 v18, 0
.LBB5_792:                              ;   in Loop: Header=BB5_762 Depth=2
	s_mov_b64 s[52:53], s[4:5]
	s_mov_b32 s57, 0
	s_cbranch_execnz .LBB5_794
.LBB5_793:                              ;   in Loop: Header=BB5_762 Depth=2
	global_load_dwordx2 v[17:18], v2, s[4:5]
	s_add_i32 s57, s56, -8
.LBB5_794:                              ;   in Loop: Header=BB5_762 Depth=2
	s_add_u32 s4, s52, 8
	s_addc_u32 s5, s53, 0
	s_cmp_gt_u32 s57, 7
	s_cbranch_scc1 .LBB5_798
; %bb.795:                              ;   in Loop: Header=BB5_762 Depth=2
	s_cmp_eq_u32 s57, 0
	s_cbranch_scc1 .LBB5_799
; %bb.796:                              ;   in Loop: Header=BB5_762 Depth=2
	v_mov_b32_e32 v19, 0
	s_mov_b64 s[4:5], 0
	v_mov_b32_e32 v20, 0
	s_mov_b64 s[54:55], 0
.LBB5_797:                              ;   Parent Loop BB5_280 Depth=1
                                        ;     Parent Loop BB5_762 Depth=2
                                        ; =>    This Inner Loop Header: Depth=3
	s_add_u32 s58, s52, s54
	s_addc_u32 s59, s53, s55
	global_load_ubyte v1, v2, s[58:59]
	s_add_u32 s54, s54, 1
	s_addc_u32 s55, s55, 0
	s_waitcnt vmcnt(0)
	v_and_b32_e32 v1, 0xffff, v1
	v_lshlrev_b64 v[3:4], s4, v[1:2]
	s_add_u32 s4, s4, 8
	s_addc_u32 s5, s5, 0
	v_or_b32_e32 v19, v3, v19
	s_cmp_lg_u32 s57, s54
	v_or_b32_e32 v20, v4, v20
	s_cbranch_scc1 .LBB5_797
	s_branch .LBB5_800
.LBB5_798:                              ;   in Loop: Header=BB5_762 Depth=2
	s_mov_b32 s56, 0
	s_branch .LBB5_801
.LBB5_799:                              ;   in Loop: Header=BB5_762 Depth=2
	v_mov_b32_e32 v19, 0
	v_mov_b32_e32 v20, 0
.LBB5_800:                              ;   in Loop: Header=BB5_762 Depth=2
	s_mov_b64 s[4:5], s[52:53]
	s_mov_b32 s56, 0
	s_cbranch_execnz .LBB5_802
.LBB5_801:                              ;   in Loop: Header=BB5_762 Depth=2
	global_load_dwordx2 v[19:20], v2, s[52:53]
	s_add_i32 s56, s57, -8
.LBB5_802:                              ;   in Loop: Header=BB5_762 Depth=2
	s_add_u32 s52, s4, 8
	s_addc_u32 s53, s5, 0
	s_cmp_gt_u32 s56, 7
	s_cbranch_scc1 .LBB5_806
; %bb.803:                              ;   in Loop: Header=BB5_762 Depth=2
	s_cmp_eq_u32 s56, 0
	s_cbranch_scc1 .LBB5_807
; %bb.804:                              ;   in Loop: Header=BB5_762 Depth=2
	v_mov_b32_e32 v21, 0
	s_mov_b64 s[52:53], 0
	v_mov_b32_e32 v22, 0
	s_mov_b64 s[54:55], 0
.LBB5_805:                              ;   Parent Loop BB5_280 Depth=1
                                        ;     Parent Loop BB5_762 Depth=2
                                        ; =>    This Inner Loop Header: Depth=3
	s_add_u32 s58, s4, s54
	s_addc_u32 s59, s5, s55
	global_load_ubyte v1, v2, s[58:59]
	s_add_u32 s54, s54, 1
	s_addc_u32 s55, s55, 0
	s_waitcnt vmcnt(0)
	v_and_b32_e32 v1, 0xffff, v1
	v_lshlrev_b64 v[3:4], s52, v[1:2]
	s_add_u32 s52, s52, 8
	s_addc_u32 s53, s53, 0
	v_or_b32_e32 v21, v3, v21
	s_cmp_lg_u32 s56, s54
	v_or_b32_e32 v22, v4, v22
	s_cbranch_scc1 .LBB5_805
	s_branch .LBB5_808
.LBB5_806:                              ;   in Loop: Header=BB5_762 Depth=2
                                        ; implicit-def: $vgpr21_vgpr22
	s_mov_b32 s57, 0
	s_branch .LBB5_809
.LBB5_807:                              ;   in Loop: Header=BB5_762 Depth=2
	v_mov_b32_e32 v21, 0
	v_mov_b32_e32 v22, 0
.LBB5_808:                              ;   in Loop: Header=BB5_762 Depth=2
	s_mov_b64 s[52:53], s[4:5]
	s_mov_b32 s57, 0
	s_cbranch_execnz .LBB5_810
.LBB5_809:                              ;   in Loop: Header=BB5_762 Depth=2
	global_load_dwordx2 v[21:22], v2, s[4:5]
	s_add_i32 s57, s56, -8
.LBB5_810:                              ;   in Loop: Header=BB5_762 Depth=2
	s_cmp_gt_u32 s57, 7
	s_cbranch_scc1 .LBB5_814
; %bb.811:                              ;   in Loop: Header=BB5_762 Depth=2
	s_cmp_eq_u32 s57, 0
	s_cbranch_scc1 .LBB5_815
; %bb.812:                              ;   in Loop: Header=BB5_762 Depth=2
	v_mov_b32_e32 v23, 0
	s_mov_b64 s[4:5], 0
	v_mov_b32_e32 v24, 0
	s_mov_b64 s[54:55], s[52:53]
.LBB5_813:                              ;   Parent Loop BB5_280 Depth=1
                                        ;     Parent Loop BB5_762 Depth=2
                                        ; =>    This Inner Loop Header: Depth=3
	global_load_ubyte v1, v2, s[54:55]
	s_add_i32 s57, s57, -1
	s_waitcnt vmcnt(0)
	v_and_b32_e32 v1, 0xffff, v1
	v_lshlrev_b64 v[3:4], s4, v[1:2]
	s_add_u32 s4, s4, 8
	s_addc_u32 s5, s5, 0
	s_add_u32 s54, s54, 1
	s_addc_u32 s55, s55, 0
	v_or_b32_e32 v23, v3, v23
	s_cmp_lg_u32 s57, 0
	v_or_b32_e32 v24, v4, v24
	s_cbranch_scc1 .LBB5_813
	s_branch .LBB5_816
.LBB5_814:                              ;   in Loop: Header=BB5_762 Depth=2
	s_branch .LBB5_817
.LBB5_815:                              ;   in Loop: Header=BB5_762 Depth=2
	v_mov_b32_e32 v23, 0
	v_mov_b32_e32 v24, 0
.LBB5_816:                              ;   in Loop: Header=BB5_762 Depth=2
	s_cbranch_execnz .LBB5_818
.LBB5_817:                              ;   in Loop: Header=BB5_762 Depth=2
	global_load_dwordx2 v[23:24], v2, s[52:53]
.LBB5_818:                              ;   in Loop: Header=BB5_762 Depth=2
	v_readfirstlane_b32 s4, v45
	v_mov_b32_e32 v3, 0
	v_mov_b32_e32 v4, 0
	v_cmp_eq_u32_e64 s[4:5], s4, v45
	s_and_saveexec_b64 s[52:53], s[4:5]
	s_cbranch_execz .LBB5_824
; %bb.819:                              ;   in Loop: Header=BB5_762 Depth=2
	global_load_dwordx2 v[27:28], v2, s[34:35] offset:24 glc
	s_waitcnt vmcnt(0)
	buffer_wbinvl1_vol
	global_load_dwordx2 v[3:4], v2, s[34:35] offset:40
	global_load_dwordx2 v[25:26], v2, s[34:35]
	s_waitcnt vmcnt(1)
	v_and_b32_e32 v1, v3, v27
	v_and_b32_e32 v3, v4, v28
	v_mul_lo_u32 v3, v3, 24
	v_mul_hi_u32 v4, v1, 24
	v_mul_lo_u32 v1, v1, 24
	v_add_u32_e32 v4, v4, v3
	s_waitcnt vmcnt(0)
	v_add_co_u32_e32 v3, vcc, v25, v1
	v_addc_co_u32_e32 v4, vcc, v26, v4, vcc
	global_load_dwordx2 v[25:26], v[3:4], off glc
	s_waitcnt vmcnt(0)
	global_atomic_cmpswap_x2 v[3:4], v2, v[25:28], s[34:35] offset:24 glc
	s_waitcnt vmcnt(0)
	buffer_wbinvl1_vol
	v_cmp_ne_u64_e32 vcc, v[3:4], v[27:28]
	s_and_saveexec_b64 s[54:55], vcc
	s_cbranch_execz .LBB5_823
; %bb.820:                              ;   in Loop: Header=BB5_762 Depth=2
	s_mov_b64 s[56:57], 0
.LBB5_821:                              ;   Parent Loop BB5_280 Depth=1
                                        ;     Parent Loop BB5_762 Depth=2
                                        ; =>    This Inner Loop Header: Depth=3
	s_sleep 1
	global_load_dwordx2 v[25:26], v2, s[34:35] offset:40
	global_load_dwordx2 v[29:30], v2, s[34:35]
	v_mov_b32_e32 v28, v4
	v_mov_b32_e32 v27, v3
	s_waitcnt vmcnt(1)
	v_and_b32_e32 v1, v25, v27
	s_waitcnt vmcnt(0)
	v_mad_u64_u32 v[3:4], s[58:59], v1, 24, v[29:30]
	v_and_b32_e32 v25, v26, v28
	v_mov_b32_e32 v1, v4
	v_mad_u64_u32 v[25:26], s[58:59], v25, 24, v[1:2]
	v_mov_b32_e32 v4, v25
	global_load_dwordx2 v[25:26], v[3:4], off glc
	s_waitcnt vmcnt(0)
	global_atomic_cmpswap_x2 v[3:4], v2, v[25:28], s[34:35] offset:24 glc
	s_waitcnt vmcnt(0)
	buffer_wbinvl1_vol
	v_cmp_eq_u64_e32 vcc, v[3:4], v[27:28]
	s_or_b64 s[56:57], vcc, s[56:57]
	s_andn2_b64 exec, exec, s[56:57]
	s_cbranch_execnz .LBB5_821
; %bb.822:                              ;   in Loop: Header=BB5_762 Depth=2
	s_or_b64 exec, exec, s[56:57]
.LBB5_823:                              ;   in Loop: Header=BB5_762 Depth=2
	s_or_b64 exec, exec, s[54:55]
.LBB5_824:                              ;   in Loop: Header=BB5_762 Depth=2
	s_or_b64 exec, exec, s[52:53]
	global_load_dwordx2 v[29:30], v2, s[34:35] offset:40
	global_load_dwordx4 v[25:28], v2, s[34:35]
	v_readfirstlane_b32 s53, v4
	v_readfirstlane_b32 s52, v3
	s_mov_b64 s[54:55], exec
	s_waitcnt vmcnt(1)
	v_readfirstlane_b32 s56, v29
	v_readfirstlane_b32 s57, v30
	s_and_b64 s[56:57], s[56:57], s[52:53]
	s_mul_i32 s58, s57, 24
	s_mul_hi_u32 s59, s56, 24
	s_mul_i32 s61, s56, 24
	s_add_i32 s58, s59, s58
	v_mov_b32_e32 v1, s58
	s_waitcnt vmcnt(0)
	v_add_co_u32_e32 v29, vcc, s61, v25
	v_addc_co_u32_e32 v30, vcc, v26, v1, vcc
	s_and_saveexec_b64 s[58:59], s[4:5]
	s_cbranch_execz .LBB5_826
; %bb.825:                              ;   in Loop: Header=BB5_762 Depth=2
	v_mov_b32_e32 v3, s54
	v_mov_b32_e32 v4, s55
	global_store_dwordx4 v[29:30], v[3:6], off offset:8
.LBB5_826:                              ;   in Loop: Header=BB5_762 Depth=2
	s_or_b64 exec, exec, s[58:59]
	s_lshl_b64 s[54:55], s[56:57], 12
	v_cmp_gt_u64_e64 s[56:57], s[28:29], 56
	v_mov_b32_e32 v1, s55
	v_add_co_u32_e32 v27, vcc, s54, v27
	s_and_b64 s[54:55], s[56:57], exec
	s_cselect_b32 s54, 0, 2
	s_lshl_b32 s55, s30, 2
	v_addc_co_u32_e32 v28, vcc, v28, v1, vcc
	s_add_i32 s55, s55, 28
	v_and_b32_e32 v1, 0xffffff1f, v9
	s_and_b32 s55, s55, 0x1e0
	v_or_b32_e32 v1, s54, v1
	v_or_b32_e32 v9, s55, v1
	v_readfirstlane_b32 s54, v27
	v_readfirstlane_b32 s55, v28
	s_nop 4
	global_store_dwordx4 v44, v[9:12], s[54:55]
	global_store_dwordx4 v44, v[13:16], s[54:55] offset:16
	global_store_dwordx4 v44, v[17:20], s[54:55] offset:32
	;; [unrolled: 1-line block ×3, first 2 shown]
	s_and_saveexec_b64 s[54:55], s[4:5]
	s_cbranch_execz .LBB5_834
; %bb.827:                              ;   in Loop: Header=BB5_762 Depth=2
	global_load_dwordx2 v[13:14], v2, s[34:35] offset:32 glc
	global_load_dwordx2 v[3:4], v2, s[34:35] offset:40
	v_mov_b32_e32 v11, s52
	v_mov_b32_e32 v12, s53
	s_waitcnt vmcnt(0)
	v_readfirstlane_b32 s56, v3
	v_readfirstlane_b32 s57, v4
	s_and_b64 s[56:57], s[56:57], s[52:53]
	s_mul_i32 s57, s57, 24
	s_mul_hi_u32 s58, s56, 24
	s_mul_i32 s56, s56, 24
	s_add_i32 s57, s58, s57
	v_mov_b32_e32 v1, s57
	v_add_co_u32_e32 v3, vcc, s56, v25
	v_addc_co_u32_e32 v4, vcc, v26, v1, vcc
	global_store_dwordx2 v[3:4], v[13:14], off
	s_waitcnt vmcnt(0)
	global_atomic_cmpswap_x2 v[11:12], v2, v[11:14], s[34:35] offset:32 glc
	s_waitcnt vmcnt(0)
	v_cmp_ne_u64_e32 vcc, v[11:12], v[13:14]
	s_and_saveexec_b64 s[56:57], vcc
	s_cbranch_execz .LBB5_830
; %bb.828:                              ;   in Loop: Header=BB5_762 Depth=2
	s_mov_b64 s[58:59], 0
.LBB5_829:                              ;   Parent Loop BB5_280 Depth=1
                                        ;     Parent Loop BB5_762 Depth=2
                                        ; =>    This Inner Loop Header: Depth=3
	s_sleep 1
	global_store_dwordx2 v[3:4], v[11:12], off
	v_mov_b32_e32 v9, s52
	v_mov_b32_e32 v10, s53
	s_waitcnt vmcnt(0)
	global_atomic_cmpswap_x2 v[9:10], v2, v[9:12], s[34:35] offset:32 glc
	s_waitcnt vmcnt(0)
	v_cmp_eq_u64_e32 vcc, v[9:10], v[11:12]
	v_mov_b32_e32 v12, v10
	s_or_b64 s[58:59], vcc, s[58:59]
	v_mov_b32_e32 v11, v9
	s_andn2_b64 exec, exec, s[58:59]
	s_cbranch_execnz .LBB5_829
.LBB5_830:                              ;   in Loop: Header=BB5_762 Depth=2
	s_or_b64 exec, exec, s[56:57]
	global_load_dwordx2 v[3:4], v2, s[34:35] offset:16
	s_mov_b64 s[58:59], exec
	v_mbcnt_lo_u32_b32 v1, s58, 0
	v_mbcnt_hi_u32_b32 v1, s59, v1
	v_cmp_eq_u32_e32 vcc, 0, v1
	s_and_saveexec_b64 s[56:57], vcc
	s_cbranch_execz .LBB5_832
; %bb.831:                              ;   in Loop: Header=BB5_762 Depth=2
	s_bcnt1_i32_b64 s58, s[58:59]
	v_mov_b32_e32 v1, s58
	s_waitcnt vmcnt(0)
	global_atomic_add_x2 v[3:4], v[1:2], off offset:8
.LBB5_832:                              ;   in Loop: Header=BB5_762 Depth=2
	s_or_b64 exec, exec, s[56:57]
	s_waitcnt vmcnt(0)
	global_load_dwordx2 v[9:10], v[3:4], off offset:16
	s_waitcnt vmcnt(0)
	v_cmp_eq_u64_e32 vcc, 0, v[9:10]
	s_cbranch_vccnz .LBB5_834
; %bb.833:                              ;   in Loop: Header=BB5_762 Depth=2
	global_load_dword v1, v[3:4], off offset:24
	s_waitcnt vmcnt(0)
	v_readfirstlane_b32 s56, v1
	s_and_b32 m0, s56, 0xffffff
	global_store_dwordx2 v[9:10], v[1:2], off
	s_sendmsg sendmsg(MSG_INTERRUPT)
.LBB5_834:                              ;   in Loop: Header=BB5_762 Depth=2
	s_or_b64 exec, exec, s[54:55]
	v_add_co_u32_e32 v3, vcc, v27, v44
	v_addc_co_u32_e32 v4, vcc, 0, v28, vcc
	s_branch .LBB5_838
.LBB5_835:                              ;   in Loop: Header=BB5_838 Depth=3
	s_or_b64 exec, exec, s[54:55]
	v_readfirstlane_b32 s54, v1
	s_cmp_eq_u32 s54, 0
	s_cbranch_scc1 .LBB5_837
; %bb.836:                              ;   in Loop: Header=BB5_838 Depth=3
	s_sleep 1
	s_cbranch_execnz .LBB5_838
	s_branch .LBB5_840
.LBB5_837:                              ;   in Loop: Header=BB5_762 Depth=2
	s_branch .LBB5_840
.LBB5_838:                              ;   Parent Loop BB5_280 Depth=1
                                        ;     Parent Loop BB5_762 Depth=2
                                        ; =>    This Inner Loop Header: Depth=3
	v_mov_b32_e32 v1, 1
	s_and_saveexec_b64 s[54:55], s[4:5]
	s_cbranch_execz .LBB5_835
; %bb.839:                              ;   in Loop: Header=BB5_838 Depth=3
	global_load_dword v1, v[29:30], off offset:20 glc
	s_waitcnt vmcnt(0)
	buffer_wbinvl1_vol
	v_and_b32_e32 v1, 1, v1
	s_branch .LBB5_835
.LBB5_840:                              ;   in Loop: Header=BB5_762 Depth=2
	global_load_dwordx4 v[9:12], v[3:4], off
	s_and_saveexec_b64 s[54:55], s[4:5]
	s_cbranch_execz .LBB5_761
; %bb.841:                              ;   in Loop: Header=BB5_762 Depth=2
	global_load_dwordx2 v[3:4], v2, s[34:35] offset:40
	global_load_dwordx2 v[15:16], v2, s[34:35] offset:24 glc
	global_load_dwordx2 v[11:12], v2, s[34:35]
	s_waitcnt vmcnt(2)
	v_readfirstlane_b32 s56, v3
	v_readfirstlane_b32 s57, v4
	s_add_u32 s58, s56, 1
	s_addc_u32 s59, s57, 0
	s_add_u32 s4, s58, s52
	s_addc_u32 s5, s59, s53
	s_cmp_eq_u64 s[4:5], 0
	s_cselect_b32 s5, s59, s5
	s_cselect_b32 s4, s58, s4
	s_and_b64 s[52:53], s[4:5], s[56:57]
	s_mul_i32 s53, s53, 24
	s_mul_hi_u32 s56, s52, 24
	s_mul_i32 s52, s52, 24
	s_add_i32 s53, s56, s53
	v_mov_b32_e32 v1, s53
	s_waitcnt vmcnt(0)
	v_add_co_u32_e32 v3, vcc, s52, v11
	v_addc_co_u32_e32 v4, vcc, v12, v1, vcc
	v_mov_b32_e32 v13, s4
	global_store_dwordx2 v[3:4], v[15:16], off
	v_mov_b32_e32 v14, s5
	s_waitcnt vmcnt(0)
	global_atomic_cmpswap_x2 v[13:14], v2, v[13:16], s[34:35] offset:24 glc
	s_waitcnt vmcnt(0)
	v_cmp_ne_u64_e32 vcc, v[13:14], v[15:16]
	s_and_b64 exec, exec, vcc
	s_cbranch_execz .LBB5_761
; %bb.842:                              ;   in Loop: Header=BB5_762 Depth=2
	s_mov_b64 s[52:53], 0
.LBB5_843:                              ;   Parent Loop BB5_280 Depth=1
                                        ;     Parent Loop BB5_762 Depth=2
                                        ; =>    This Inner Loop Header: Depth=3
	s_sleep 1
	global_store_dwordx2 v[3:4], v[13:14], off
	v_mov_b32_e32 v11, s4
	v_mov_b32_e32 v12, s5
	s_waitcnt vmcnt(0)
	global_atomic_cmpswap_x2 v[11:12], v2, v[11:14], s[34:35] offset:24 glc
	s_waitcnt vmcnt(0)
	v_cmp_eq_u64_e32 vcc, v[11:12], v[13:14]
	v_mov_b32_e32 v14, v12
	s_or_b64 s[52:53], vcc, s[52:53]
	v_mov_b32_e32 v13, v11
	s_andn2_b64 exec, exec, s[52:53]
	s_cbranch_execnz .LBB5_843
	s_branch .LBB5_761
.LBB5_844:                              ;   in Loop: Header=BB5_280 Depth=1
	s_branch .LBB5_873
.LBB5_845:                              ;   in Loop: Header=BB5_280 Depth=1
	s_cbranch_execz .LBB5_873
; %bb.846:                              ;   in Loop: Header=BB5_280 Depth=1
	v_readfirstlane_b32 s4, v45
	v_mov_b32_e32 v3, 0
	v_mov_b32_e32 v4, 0
	v_cmp_eq_u32_e64 s[4:5], s4, v45
	s_and_saveexec_b64 s[24:25], s[4:5]
	s_cbranch_execz .LBB5_852
; %bb.847:                              ;   in Loop: Header=BB5_280 Depth=1
	global_load_dwordx2 v[11:12], v2, s[34:35] offset:24 glc
	s_waitcnt vmcnt(0)
	buffer_wbinvl1_vol
	global_load_dwordx2 v[3:4], v2, s[34:35] offset:40
	global_load_dwordx2 v[9:10], v2, s[34:35]
	s_waitcnt vmcnt(1)
	v_and_b32_e32 v1, v3, v11
	v_and_b32_e32 v3, v4, v12
	v_mul_lo_u32 v3, v3, 24
	v_mul_hi_u32 v4, v1, 24
	v_mul_lo_u32 v1, v1, 24
	v_add_u32_e32 v4, v4, v3
	s_waitcnt vmcnt(0)
	v_add_co_u32_e32 v3, vcc, v9, v1
	v_addc_co_u32_e32 v4, vcc, v10, v4, vcc
	global_load_dwordx2 v[9:10], v[3:4], off glc
	s_waitcnt vmcnt(0)
	global_atomic_cmpswap_x2 v[3:4], v2, v[9:12], s[34:35] offset:24 glc
	s_waitcnt vmcnt(0)
	buffer_wbinvl1_vol
	v_cmp_ne_u64_e32 vcc, v[3:4], v[11:12]
	s_and_saveexec_b64 s[28:29], vcc
	s_cbranch_execz .LBB5_851
; %bb.848:                              ;   in Loop: Header=BB5_280 Depth=1
	s_mov_b64 s[30:31], 0
.LBB5_849:                              ;   Parent Loop BB5_280 Depth=1
                                        ; =>  This Inner Loop Header: Depth=2
	s_sleep 1
	global_load_dwordx2 v[9:10], v2, s[34:35] offset:40
	global_load_dwordx2 v[13:14], v2, s[34:35]
	v_mov_b32_e32 v12, v4
	v_mov_b32_e32 v11, v3
	s_waitcnt vmcnt(1)
	v_and_b32_e32 v1, v9, v11
	s_waitcnt vmcnt(0)
	v_mad_u64_u32 v[3:4], s[52:53], v1, 24, v[13:14]
	v_and_b32_e32 v9, v10, v12
	v_mov_b32_e32 v1, v4
	v_mad_u64_u32 v[9:10], s[52:53], v9, 24, v[1:2]
	v_mov_b32_e32 v4, v9
	global_load_dwordx2 v[9:10], v[3:4], off glc
	s_waitcnt vmcnt(0)
	global_atomic_cmpswap_x2 v[3:4], v2, v[9:12], s[34:35] offset:24 glc
	s_waitcnt vmcnt(0)
	buffer_wbinvl1_vol
	v_cmp_eq_u64_e32 vcc, v[3:4], v[11:12]
	s_or_b64 s[30:31], vcc, s[30:31]
	s_andn2_b64 exec, exec, s[30:31]
	s_cbranch_execnz .LBB5_849
; %bb.850:                              ;   in Loop: Header=BB5_280 Depth=1
	s_or_b64 exec, exec, s[30:31]
.LBB5_851:                              ;   in Loop: Header=BB5_280 Depth=1
	s_or_b64 exec, exec, s[28:29]
.LBB5_852:                              ;   in Loop: Header=BB5_280 Depth=1
	s_or_b64 exec, exec, s[24:25]
	global_load_dwordx2 v[9:10], v2, s[34:35] offset:40
	global_load_dwordx4 v[11:14], v2, s[34:35]
	v_readfirstlane_b32 s25, v4
	v_readfirstlane_b32 s24, v3
	s_mov_b64 s[28:29], exec
	s_waitcnt vmcnt(1)
	v_readfirstlane_b32 s30, v9
	v_readfirstlane_b32 s31, v10
	s_and_b64 s[30:31], s[30:31], s[24:25]
	s_mul_i32 s52, s31, 24
	s_mul_hi_u32 s53, s30, 24
	s_mul_i32 s54, s30, 24
	s_add_i32 s52, s53, s52
	v_mov_b32_e32 v1, s52
	s_waitcnt vmcnt(0)
	v_add_co_u32_e32 v15, vcc, s54, v11
	v_addc_co_u32_e32 v16, vcc, v12, v1, vcc
	s_and_saveexec_b64 s[52:53], s[4:5]
	s_cbranch_execz .LBB5_854
; %bb.853:                              ;   in Loop: Header=BB5_280 Depth=1
	v_mov_b32_e32 v3, s28
	v_mov_b32_e32 v4, s29
	global_store_dwordx4 v[15:16], v[3:6], off offset:8
.LBB5_854:                              ;   in Loop: Header=BB5_280 Depth=1
	s_or_b64 exec, exec, s[52:53]
	s_lshl_b64 s[28:29], s[30:31], 12
	v_mov_b32_e32 v1, s29
	v_add_co_u32_e32 v3, vcc, s28, v13
	v_addc_co_u32_e32 v1, vcc, v14, v1, vcc
	v_and_or_b32 v7, v7, s60, 34
	v_mov_b32_e32 v9, v2
	v_mov_b32_e32 v10, v2
	v_readfirstlane_b32 s28, v3
	v_readfirstlane_b32 s29, v1
	s_nop 4
	global_store_dwordx4 v44, v[7:10], s[28:29]
	s_nop 0
	v_mov_b32_e32 v7, s8
	v_mov_b32_e32 v8, s9
	;; [unrolled: 1-line block ×4, first 2 shown]
	global_store_dwordx4 v44, v[7:10], s[28:29] offset:16
	global_store_dwordx4 v44, v[7:10], s[28:29] offset:32
	;; [unrolled: 1-line block ×3, first 2 shown]
	s_and_saveexec_b64 s[28:29], s[4:5]
	s_cbranch_execz .LBB5_862
; %bb.855:                              ;   in Loop: Header=BB5_280 Depth=1
	global_load_dwordx2 v[19:20], v2, s[34:35] offset:32 glc
	global_load_dwordx2 v[3:4], v2, s[34:35] offset:40
	v_mov_b32_e32 v17, s24
	v_mov_b32_e32 v18, s25
	s_waitcnt vmcnt(0)
	v_readfirstlane_b32 s30, v3
	v_readfirstlane_b32 s31, v4
	s_and_b64 s[30:31], s[30:31], s[24:25]
	s_mul_i32 s31, s31, 24
	s_mul_hi_u32 s52, s30, 24
	s_mul_i32 s30, s30, 24
	s_add_i32 s31, s52, s31
	v_mov_b32_e32 v1, s31
	v_add_co_u32_e32 v3, vcc, s30, v11
	v_addc_co_u32_e32 v4, vcc, v12, v1, vcc
	global_store_dwordx2 v[3:4], v[19:20], off
	s_waitcnt vmcnt(0)
	global_atomic_cmpswap_x2 v[9:10], v2, v[17:20], s[34:35] offset:32 glc
	s_waitcnt vmcnt(0)
	v_cmp_ne_u64_e32 vcc, v[9:10], v[19:20]
	s_and_saveexec_b64 s[30:31], vcc
	s_cbranch_execz .LBB5_858
; %bb.856:                              ;   in Loop: Header=BB5_280 Depth=1
	s_mov_b64 s[52:53], 0
.LBB5_857:                              ;   Parent Loop BB5_280 Depth=1
                                        ; =>  This Inner Loop Header: Depth=2
	s_sleep 1
	global_store_dwordx2 v[3:4], v[9:10], off
	v_mov_b32_e32 v7, s24
	v_mov_b32_e32 v8, s25
	s_waitcnt vmcnt(0)
	global_atomic_cmpswap_x2 v[7:8], v2, v[7:10], s[34:35] offset:32 glc
	s_waitcnt vmcnt(0)
	v_cmp_eq_u64_e32 vcc, v[7:8], v[9:10]
	v_mov_b32_e32 v10, v8
	s_or_b64 s[52:53], vcc, s[52:53]
	v_mov_b32_e32 v9, v7
	s_andn2_b64 exec, exec, s[52:53]
	s_cbranch_execnz .LBB5_857
.LBB5_858:                              ;   in Loop: Header=BB5_280 Depth=1
	s_or_b64 exec, exec, s[30:31]
	global_load_dwordx2 v[3:4], v2, s[34:35] offset:16
	s_mov_b64 s[52:53], exec
	v_mbcnt_lo_u32_b32 v1, s52, 0
	v_mbcnt_hi_u32_b32 v1, s53, v1
	v_cmp_eq_u32_e32 vcc, 0, v1
	s_and_saveexec_b64 s[30:31], vcc
	s_cbranch_execz .LBB5_860
; %bb.859:                              ;   in Loop: Header=BB5_280 Depth=1
	s_bcnt1_i32_b64 s52, s[52:53]
	v_mov_b32_e32 v1, s52
	s_waitcnt vmcnt(0)
	global_atomic_add_x2 v[3:4], v[1:2], off offset:8
.LBB5_860:                              ;   in Loop: Header=BB5_280 Depth=1
	s_or_b64 exec, exec, s[30:31]
	s_waitcnt vmcnt(0)
	global_load_dwordx2 v[7:8], v[3:4], off offset:16
	s_waitcnt vmcnt(0)
	v_cmp_eq_u64_e32 vcc, 0, v[7:8]
	s_cbranch_vccnz .LBB5_862
; %bb.861:                              ;   in Loop: Header=BB5_280 Depth=1
	global_load_dword v1, v[3:4], off offset:24
	s_waitcnt vmcnt(0)
	v_readfirstlane_b32 s30, v1
	s_and_b32 m0, s30, 0xffffff
	global_store_dwordx2 v[7:8], v[1:2], off
	s_sendmsg sendmsg(MSG_INTERRUPT)
.LBB5_862:                              ;   in Loop: Header=BB5_280 Depth=1
	s_or_b64 exec, exec, s[28:29]
	s_branch .LBB5_866
.LBB5_863:                              ;   in Loop: Header=BB5_866 Depth=2
	s_or_b64 exec, exec, s[28:29]
	v_readfirstlane_b32 s28, v1
	s_cmp_eq_u32 s28, 0
	s_cbranch_scc1 .LBB5_865
; %bb.864:                              ;   in Loop: Header=BB5_866 Depth=2
	s_sleep 1
	s_cbranch_execnz .LBB5_866
	s_branch .LBB5_868
.LBB5_865:                              ;   in Loop: Header=BB5_280 Depth=1
	s_branch .LBB5_868
.LBB5_866:                              ;   Parent Loop BB5_280 Depth=1
                                        ; =>  This Inner Loop Header: Depth=2
	v_mov_b32_e32 v1, 1
	s_and_saveexec_b64 s[28:29], s[4:5]
	s_cbranch_execz .LBB5_863
; %bb.867:                              ;   in Loop: Header=BB5_866 Depth=2
	global_load_dword v1, v[15:16], off offset:20 glc
	s_waitcnt vmcnt(0)
	buffer_wbinvl1_vol
	v_and_b32_e32 v1, 1, v1
	s_branch .LBB5_863
.LBB5_868:                              ;   in Loop: Header=BB5_280 Depth=1
	s_and_saveexec_b64 s[28:29], s[4:5]
	s_cbranch_execz .LBB5_872
; %bb.869:                              ;   in Loop: Header=BB5_280 Depth=1
	global_load_dwordx2 v[3:4], v2, s[34:35] offset:40
	global_load_dwordx2 v[11:12], v2, s[34:35] offset:24 glc
	global_load_dwordx2 v[7:8], v2, s[34:35]
	s_waitcnt vmcnt(2)
	v_readfirstlane_b32 s30, v3
	v_readfirstlane_b32 s31, v4
	s_add_u32 s52, s30, 1
	s_addc_u32 s53, s31, 0
	s_add_u32 s4, s52, s24
	s_addc_u32 s5, s53, s25
	s_cmp_eq_u64 s[4:5], 0
	s_cselect_b32 s5, s53, s5
	s_cselect_b32 s4, s52, s4
	s_and_b64 s[24:25], s[4:5], s[30:31]
	s_mul_i32 s25, s25, 24
	s_mul_hi_u32 s30, s24, 24
	s_mul_i32 s24, s24, 24
	s_add_i32 s25, s30, s25
	v_mov_b32_e32 v1, s25
	s_waitcnt vmcnt(0)
	v_add_co_u32_e32 v3, vcc, s24, v7
	v_addc_co_u32_e32 v4, vcc, v8, v1, vcc
	v_mov_b32_e32 v9, s4
	global_store_dwordx2 v[3:4], v[11:12], off
	v_mov_b32_e32 v10, s5
	s_waitcnt vmcnt(0)
	global_atomic_cmpswap_x2 v[9:10], v2, v[9:12], s[34:35] offset:24 glc
	s_waitcnt vmcnt(0)
	v_cmp_ne_u64_e32 vcc, v[9:10], v[11:12]
	s_and_b64 exec, exec, vcc
	s_cbranch_execz .LBB5_872
; %bb.870:                              ;   in Loop: Header=BB5_280 Depth=1
	s_mov_b64 s[24:25], 0
.LBB5_871:                              ;   Parent Loop BB5_280 Depth=1
                                        ; =>  This Inner Loop Header: Depth=2
	s_sleep 1
	global_store_dwordx2 v[3:4], v[9:10], off
	v_mov_b32_e32 v7, s4
	v_mov_b32_e32 v8, s5
	s_waitcnt vmcnt(0)
	global_atomic_cmpswap_x2 v[7:8], v2, v[7:10], s[34:35] offset:24 glc
	s_waitcnt vmcnt(0)
	v_cmp_eq_u64_e32 vcc, v[7:8], v[9:10]
	v_mov_b32_e32 v10, v8
	s_or_b64 s[24:25], vcc, s[24:25]
	v_mov_b32_e32 v9, v7
	s_andn2_b64 exec, exec, s[24:25]
	s_cbranch_execnz .LBB5_871
.LBB5_872:                              ;   in Loop: Header=BB5_280 Depth=1
	s_or_b64 exec, exec, s[28:29]
.LBB5_873:                              ;   in Loop: Header=BB5_280 Depth=1
	s_add_u32 s4, s46, s22
	s_addc_u32 s5, s47, s23
	global_load_dword v1, v2, s[4:5]
	s_waitcnt vmcnt(0)
	v_cmp_eq_u32_e32 vcc, -1, v1
	v_readfirstlane_b32 s61, v1
	s_cbranch_vccnz .LBB5_986
; %bb.874:                              ;   in Loop: Header=BB5_280 Depth=1
	v_readfirstlane_b32 s4, v45
	v_mov_b32_e32 v3, 0
	v_mov_b32_e32 v4, 0
	v_cmp_eq_u32_e64 s[4:5], s4, v45
	s_and_saveexec_b64 s[24:25], s[4:5]
	s_cbranch_execz .LBB5_880
; %bb.875:                              ;   in Loop: Header=BB5_280 Depth=1
	global_load_dwordx2 v[9:10], v2, s[34:35] offset:24 glc
	s_waitcnt vmcnt(0)
	buffer_wbinvl1_vol
	global_load_dwordx2 v[3:4], v2, s[34:35] offset:40
	global_load_dwordx2 v[7:8], v2, s[34:35]
	s_waitcnt vmcnt(1)
	v_and_b32_e32 v1, v3, v9
	v_and_b32_e32 v3, v4, v10
	v_mul_lo_u32 v3, v3, 24
	v_mul_hi_u32 v4, v1, 24
	v_mul_lo_u32 v1, v1, 24
	v_add_u32_e32 v4, v4, v3
	s_waitcnt vmcnt(0)
	v_add_co_u32_e32 v3, vcc, v7, v1
	v_addc_co_u32_e32 v4, vcc, v8, v4, vcc
	global_load_dwordx2 v[7:8], v[3:4], off glc
	s_waitcnt vmcnt(0)
	global_atomic_cmpswap_x2 v[3:4], v2, v[7:10], s[34:35] offset:24 glc
	s_waitcnt vmcnt(0)
	buffer_wbinvl1_vol
	v_cmp_ne_u64_e32 vcc, v[3:4], v[9:10]
	s_and_saveexec_b64 s[28:29], vcc
	s_cbranch_execz .LBB5_879
; %bb.876:                              ;   in Loop: Header=BB5_280 Depth=1
	s_mov_b64 s[30:31], 0
.LBB5_877:                              ;   Parent Loop BB5_280 Depth=1
                                        ; =>  This Inner Loop Header: Depth=2
	s_sleep 1
	global_load_dwordx2 v[7:8], v2, s[34:35] offset:40
	global_load_dwordx2 v[11:12], v2, s[34:35]
	v_mov_b32_e32 v10, v4
	v_mov_b32_e32 v9, v3
	s_waitcnt vmcnt(1)
	v_and_b32_e32 v1, v7, v9
	s_waitcnt vmcnt(0)
	v_mad_u64_u32 v[3:4], s[52:53], v1, 24, v[11:12]
	v_and_b32_e32 v7, v8, v10
	v_mov_b32_e32 v1, v4
	v_mad_u64_u32 v[7:8], s[52:53], v7, 24, v[1:2]
	v_mov_b32_e32 v4, v7
	global_load_dwordx2 v[7:8], v[3:4], off glc
	s_waitcnt vmcnt(0)
	global_atomic_cmpswap_x2 v[3:4], v2, v[7:10], s[34:35] offset:24 glc
	s_waitcnt vmcnt(0)
	buffer_wbinvl1_vol
	v_cmp_eq_u64_e32 vcc, v[3:4], v[9:10]
	s_or_b64 s[30:31], vcc, s[30:31]
	s_andn2_b64 exec, exec, s[30:31]
	s_cbranch_execnz .LBB5_877
; %bb.878:                              ;   in Loop: Header=BB5_280 Depth=1
	s_or_b64 exec, exec, s[30:31]
.LBB5_879:                              ;   in Loop: Header=BB5_280 Depth=1
	s_or_b64 exec, exec, s[28:29]
.LBB5_880:                              ;   in Loop: Header=BB5_280 Depth=1
	s_or_b64 exec, exec, s[24:25]
	global_load_dwordx2 v[11:12], v2, s[34:35] offset:40
	global_load_dwordx4 v[7:10], v2, s[34:35]
	v_readfirstlane_b32 s25, v4
	v_readfirstlane_b32 s24, v3
	s_mov_b64 s[28:29], exec
	s_waitcnt vmcnt(1)
	v_readfirstlane_b32 s30, v11
	v_readfirstlane_b32 s31, v12
	s_and_b64 s[30:31], s[30:31], s[24:25]
	s_mul_i32 s52, s31, 24
	s_mul_hi_u32 s53, s30, 24
	s_mul_i32 s54, s30, 24
	s_add_i32 s52, s53, s52
	v_mov_b32_e32 v1, s52
	s_waitcnt vmcnt(0)
	v_add_co_u32_e32 v11, vcc, s54, v7
	v_addc_co_u32_e32 v12, vcc, v8, v1, vcc
	s_and_saveexec_b64 s[52:53], s[4:5]
	s_cbranch_execz .LBB5_882
; %bb.881:                              ;   in Loop: Header=BB5_280 Depth=1
	v_mov_b32_e32 v3, s28
	v_mov_b32_e32 v4, s29
	global_store_dwordx4 v[11:12], v[3:6], off offset:8
.LBB5_882:                              ;   in Loop: Header=BB5_280 Depth=1
	s_or_b64 exec, exec, s[52:53]
	s_lshl_b64 s[28:29], s[30:31], 12
	v_mov_b32_e32 v1, s29
	v_add_co_u32_e32 v13, vcc, s28, v9
	v_addc_co_u32_e32 v14, vcc, v10, v1, vcc
	v_mov_b32_e32 v18, s11
	v_mov_b32_e32 v1, v2
	;; [unrolled: 1-line block ×3, first 2 shown]
	v_readfirstlane_b32 s28, v13
	v_readfirstlane_b32 s29, v14
	v_mov_b32_e32 v17, s10
	v_mov_b32_e32 v16, s9
	;; [unrolled: 1-line block ×3, first 2 shown]
	s_nop 1
	global_store_dwordx4 v44, v[0:3], s[28:29]
	global_store_dwordx4 v44, v[15:18], s[28:29] offset:16
	global_store_dwordx4 v44, v[15:18], s[28:29] offset:32
	;; [unrolled: 1-line block ×3, first 2 shown]
	s_and_saveexec_b64 s[28:29], s[4:5]
	s_cbranch_execz .LBB5_890
; %bb.883:                              ;   in Loop: Header=BB5_280 Depth=1
	global_load_dwordx2 v[17:18], v2, s[34:35] offset:32 glc
	global_load_dwordx2 v[3:4], v2, s[34:35] offset:40
	v_mov_b32_e32 v15, s24
	v_mov_b32_e32 v16, s25
	s_waitcnt vmcnt(0)
	v_readfirstlane_b32 s30, v3
	v_readfirstlane_b32 s31, v4
	s_and_b64 s[30:31], s[30:31], s[24:25]
	s_mul_i32 s31, s31, 24
	s_mul_hi_u32 s52, s30, 24
	s_mul_i32 s30, s30, 24
	s_add_i32 s31, s52, s31
	v_mov_b32_e32 v1, s31
	v_add_co_u32_e32 v3, vcc, s30, v7
	v_addc_co_u32_e32 v4, vcc, v8, v1, vcc
	global_store_dwordx2 v[3:4], v[17:18], off
	s_waitcnt vmcnt(0)
	global_atomic_cmpswap_x2 v[9:10], v2, v[15:18], s[34:35] offset:32 glc
	s_waitcnt vmcnt(0)
	v_cmp_ne_u64_e32 vcc, v[9:10], v[17:18]
	s_and_saveexec_b64 s[30:31], vcc
	s_cbranch_execz .LBB5_886
; %bb.884:                              ;   in Loop: Header=BB5_280 Depth=1
	s_mov_b64 s[52:53], 0
.LBB5_885:                              ;   Parent Loop BB5_280 Depth=1
                                        ; =>  This Inner Loop Header: Depth=2
	s_sleep 1
	global_store_dwordx2 v[3:4], v[9:10], off
	v_mov_b32_e32 v7, s24
	v_mov_b32_e32 v8, s25
	s_waitcnt vmcnt(0)
	global_atomic_cmpswap_x2 v[7:8], v2, v[7:10], s[34:35] offset:32 glc
	s_waitcnt vmcnt(0)
	v_cmp_eq_u64_e32 vcc, v[7:8], v[9:10]
	v_mov_b32_e32 v10, v8
	s_or_b64 s[52:53], vcc, s[52:53]
	v_mov_b32_e32 v9, v7
	s_andn2_b64 exec, exec, s[52:53]
	s_cbranch_execnz .LBB5_885
.LBB5_886:                              ;   in Loop: Header=BB5_280 Depth=1
	s_or_b64 exec, exec, s[30:31]
	global_load_dwordx2 v[3:4], v2, s[34:35] offset:16
	s_mov_b64 s[52:53], exec
	v_mbcnt_lo_u32_b32 v1, s52, 0
	v_mbcnt_hi_u32_b32 v1, s53, v1
	v_cmp_eq_u32_e32 vcc, 0, v1
	s_and_saveexec_b64 s[30:31], vcc
	s_cbranch_execz .LBB5_888
; %bb.887:                              ;   in Loop: Header=BB5_280 Depth=1
	s_bcnt1_i32_b64 s52, s[52:53]
	v_mov_b32_e32 v1, s52
	s_waitcnt vmcnt(0)
	global_atomic_add_x2 v[3:4], v[1:2], off offset:8
.LBB5_888:                              ;   in Loop: Header=BB5_280 Depth=1
	s_or_b64 exec, exec, s[30:31]
	s_waitcnt vmcnt(0)
	global_load_dwordx2 v[7:8], v[3:4], off offset:16
	s_waitcnt vmcnt(0)
	v_cmp_eq_u64_e32 vcc, 0, v[7:8]
	s_cbranch_vccnz .LBB5_890
; %bb.889:                              ;   in Loop: Header=BB5_280 Depth=1
	global_load_dword v1, v[3:4], off offset:24
	s_waitcnt vmcnt(0)
	v_readfirstlane_b32 s30, v1
	s_and_b32 m0, s30, 0xffffff
	global_store_dwordx2 v[7:8], v[1:2], off
	s_sendmsg sendmsg(MSG_INTERRUPT)
.LBB5_890:                              ;   in Loop: Header=BB5_280 Depth=1
	s_or_b64 exec, exec, s[28:29]
	v_add_co_u32_e32 v3, vcc, v13, v44
	v_addc_co_u32_e32 v4, vcc, 0, v14, vcc
	s_branch .LBB5_894
.LBB5_891:                              ;   in Loop: Header=BB5_894 Depth=2
	s_or_b64 exec, exec, s[28:29]
	v_readfirstlane_b32 s28, v1
	s_cmp_eq_u32 s28, 0
	s_cbranch_scc1 .LBB5_893
; %bb.892:                              ;   in Loop: Header=BB5_894 Depth=2
	s_sleep 1
	s_cbranch_execnz .LBB5_894
	s_branch .LBB5_896
.LBB5_893:                              ;   in Loop: Header=BB5_280 Depth=1
	s_branch .LBB5_896
.LBB5_894:                              ;   Parent Loop BB5_280 Depth=1
                                        ; =>  This Inner Loop Header: Depth=2
	v_mov_b32_e32 v1, 1
	s_and_saveexec_b64 s[28:29], s[4:5]
	s_cbranch_execz .LBB5_891
; %bb.895:                              ;   in Loop: Header=BB5_894 Depth=2
	global_load_dword v1, v[11:12], off offset:20 glc
	s_waitcnt vmcnt(0)
	buffer_wbinvl1_vol
	v_and_b32_e32 v1, 1, v1
	s_branch .LBB5_891
.LBB5_896:                              ;   in Loop: Header=BB5_280 Depth=1
	global_load_dwordx2 v[11:12], v[3:4], off
	s_and_saveexec_b64 s[28:29], s[4:5]
	s_cbranch_execz .LBB5_900
; %bb.897:                              ;   in Loop: Header=BB5_280 Depth=1
	global_load_dwordx2 v[3:4], v2, s[34:35] offset:40
	global_load_dwordx2 v[15:16], v2, s[34:35] offset:24 glc
	global_load_dwordx2 v[7:8], v2, s[34:35]
	s_waitcnt vmcnt(2)
	v_readfirstlane_b32 s30, v3
	v_readfirstlane_b32 s31, v4
	s_add_u32 s52, s30, 1
	s_addc_u32 s53, s31, 0
	s_add_u32 s4, s52, s24
	s_addc_u32 s5, s53, s25
	s_cmp_eq_u64 s[4:5], 0
	s_cselect_b32 s5, s53, s5
	s_cselect_b32 s4, s52, s4
	s_and_b64 s[24:25], s[4:5], s[30:31]
	s_mul_i32 s25, s25, 24
	s_mul_hi_u32 s30, s24, 24
	s_mul_i32 s24, s24, 24
	s_add_i32 s25, s30, s25
	v_mov_b32_e32 v1, s25
	s_waitcnt vmcnt(0)
	v_add_co_u32_e32 v3, vcc, s24, v7
	v_addc_co_u32_e32 v4, vcc, v8, v1, vcc
	v_mov_b32_e32 v13, s4
	global_store_dwordx2 v[3:4], v[15:16], off
	v_mov_b32_e32 v14, s5
	s_waitcnt vmcnt(0)
	global_atomic_cmpswap_x2 v[9:10], v2, v[13:16], s[34:35] offset:24 glc
	s_waitcnt vmcnt(0)
	v_cmp_ne_u64_e32 vcc, v[9:10], v[15:16]
	s_and_b64 exec, exec, vcc
	s_cbranch_execz .LBB5_900
; %bb.898:                              ;   in Loop: Header=BB5_280 Depth=1
	s_mov_b64 s[24:25], 0
.LBB5_899:                              ;   Parent Loop BB5_280 Depth=1
                                        ; =>  This Inner Loop Header: Depth=2
	s_sleep 1
	global_store_dwordx2 v[3:4], v[9:10], off
	v_mov_b32_e32 v7, s4
	v_mov_b32_e32 v8, s5
	s_waitcnt vmcnt(0)
	global_atomic_cmpswap_x2 v[7:8], v2, v[7:10], s[34:35] offset:24 glc
	s_waitcnt vmcnt(0)
	v_cmp_eq_u64_e32 vcc, v[7:8], v[9:10]
	v_mov_b32_e32 v10, v8
	s_or_b64 s[24:25], vcc, s[24:25]
	v_mov_b32_e32 v9, v7
	s_andn2_b64 exec, exec, s[24:25]
	s_cbranch_execnz .LBB5_899
.LBB5_900:                              ;   in Loop: Header=BB5_280 Depth=1
	s_or_b64 exec, exec, s[28:29]
	s_and_b64 vcc, exec, s[12:13]
	s_cbranch_vccz .LBB5_987
; %bb.901:                              ;   in Loop: Header=BB5_280 Depth=1
	s_waitcnt vmcnt(0)
	v_and_b32_e32 v31, 2, v11
	v_and_b32_e32 v7, -3, v11
	v_mov_b32_e32 v8, v12
	s_mov_b64 s[28:29], 6
	s_getpc_b64 s[24:25]
	s_add_u32 s24, s24, .str.3@rel32@lo+4
	s_addc_u32 s25, s25, .str.3@rel32@hi+12
	s_branch .LBB5_903
.LBB5_902:                              ;   in Loop: Header=BB5_903 Depth=2
	s_or_b64 exec, exec, s[54:55]
	s_sub_u32 s28, s28, s30
	s_subb_u32 s29, s29, s31
	s_add_u32 s24, s24, s30
	s_addc_u32 s25, s25, s31
	s_cmp_lg_u64 s[28:29], 0
	s_cbranch_scc0 .LBB5_985
.LBB5_903:                              ;   Parent Loop BB5_280 Depth=1
                                        ; =>  This Loop Header: Depth=2
                                        ;       Child Loop BB5_906 Depth 3
                                        ;       Child Loop BB5_914 Depth 3
	;; [unrolled: 1-line block ×11, first 2 shown]
	v_cmp_lt_u64_e64 s[4:5], s[28:29], 56
	v_cmp_gt_u64_e64 s[52:53], s[28:29], 7
	s_and_b64 s[4:5], s[4:5], exec
	s_cselect_b32 s31, s29, 0
	s_cselect_b32 s30, s28, 56
	s_add_u32 s4, s24, 8
	s_addc_u32 s5, s25, 0
	s_and_b64 vcc, exec, s[52:53]
	s_cbranch_vccnz .LBB5_907
; %bb.904:                              ;   in Loop: Header=BB5_903 Depth=2
	s_cmp_eq_u64 s[28:29], 0
	s_cbranch_scc1 .LBB5_908
; %bb.905:                              ;   in Loop: Header=BB5_903 Depth=2
	v_mov_b32_e32 v9, 0
	s_lshl_b64 s[4:5], s[30:31], 3
	s_mov_b64 s[52:53], 0
	v_mov_b32_e32 v10, 0
	s_mov_b64 s[54:55], s[24:25]
.LBB5_906:                              ;   Parent Loop BB5_280 Depth=1
                                        ;     Parent Loop BB5_903 Depth=2
                                        ; =>    This Inner Loop Header: Depth=3
	global_load_ubyte v1, v2, s[54:55]
	s_waitcnt vmcnt(0)
	v_and_b32_e32 v1, 0xffff, v1
	v_lshlrev_b64 v[3:4], s52, v[1:2]
	s_add_u32 s52, s52, 8
	s_addc_u32 s53, s53, 0
	s_add_u32 s54, s54, 1
	s_addc_u32 s55, s55, 0
	v_or_b32_e32 v9, v3, v9
	s_cmp_lg_u32 s4, s52
	v_or_b32_e32 v10, v4, v10
	s_cbranch_scc1 .LBB5_906
	s_branch .LBB5_909
.LBB5_907:                              ;   in Loop: Header=BB5_903 Depth=2
	s_mov_b32 s56, 0
	s_branch .LBB5_910
.LBB5_908:                              ;   in Loop: Header=BB5_903 Depth=2
	v_mov_b32_e32 v9, 0
	v_mov_b32_e32 v10, 0
.LBB5_909:                              ;   in Loop: Header=BB5_903 Depth=2
	s_mov_b64 s[4:5], s[24:25]
	s_mov_b32 s56, 0
	s_cbranch_execnz .LBB5_911
.LBB5_910:                              ;   in Loop: Header=BB5_903 Depth=2
	global_load_dwordx2 v[9:10], v2, s[24:25]
	s_add_i32 s56, s30, -8
.LBB5_911:                              ;   in Loop: Header=BB5_903 Depth=2
	s_add_u32 s52, s4, 8
	s_addc_u32 s53, s5, 0
	s_cmp_gt_u32 s56, 7
	s_cbranch_scc1 .LBB5_915
; %bb.912:                              ;   in Loop: Header=BB5_903 Depth=2
	s_cmp_eq_u32 s56, 0
	s_cbranch_scc1 .LBB5_916
; %bb.913:                              ;   in Loop: Header=BB5_903 Depth=2
	v_mov_b32_e32 v13, 0
	s_mov_b64 s[52:53], 0
	v_mov_b32_e32 v14, 0
	s_mov_b64 s[54:55], 0
.LBB5_914:                              ;   Parent Loop BB5_280 Depth=1
                                        ;     Parent Loop BB5_903 Depth=2
                                        ; =>    This Inner Loop Header: Depth=3
	s_add_u32 s58, s4, s54
	s_addc_u32 s59, s5, s55
	global_load_ubyte v1, v2, s[58:59]
	s_add_u32 s54, s54, 1
	s_addc_u32 s55, s55, 0
	s_waitcnt vmcnt(0)
	v_and_b32_e32 v1, 0xffff, v1
	v_lshlrev_b64 v[3:4], s52, v[1:2]
	s_add_u32 s52, s52, 8
	s_addc_u32 s53, s53, 0
	v_or_b32_e32 v13, v3, v13
	s_cmp_lg_u32 s56, s54
	v_or_b32_e32 v14, v4, v14
	s_cbranch_scc1 .LBB5_914
	s_branch .LBB5_917
.LBB5_915:                              ;   in Loop: Header=BB5_903 Depth=2
                                        ; implicit-def: $vgpr13_vgpr14
	s_mov_b32 s57, 0
	s_branch .LBB5_918
.LBB5_916:                              ;   in Loop: Header=BB5_903 Depth=2
	v_mov_b32_e32 v13, 0
	v_mov_b32_e32 v14, 0
.LBB5_917:                              ;   in Loop: Header=BB5_903 Depth=2
	s_mov_b64 s[52:53], s[4:5]
	s_mov_b32 s57, 0
	s_cbranch_execnz .LBB5_919
.LBB5_918:                              ;   in Loop: Header=BB5_903 Depth=2
	global_load_dwordx2 v[13:14], v2, s[4:5]
	s_add_i32 s57, s56, -8
.LBB5_919:                              ;   in Loop: Header=BB5_903 Depth=2
	s_add_u32 s4, s52, 8
	s_addc_u32 s5, s53, 0
	s_cmp_gt_u32 s57, 7
	s_cbranch_scc1 .LBB5_923
; %bb.920:                              ;   in Loop: Header=BB5_903 Depth=2
	s_cmp_eq_u32 s57, 0
	s_cbranch_scc1 .LBB5_924
; %bb.921:                              ;   in Loop: Header=BB5_903 Depth=2
	v_mov_b32_e32 v15, 0
	s_mov_b64 s[4:5], 0
	v_mov_b32_e32 v16, 0
	s_mov_b64 s[54:55], 0
.LBB5_922:                              ;   Parent Loop BB5_280 Depth=1
                                        ;     Parent Loop BB5_903 Depth=2
                                        ; =>    This Inner Loop Header: Depth=3
	s_add_u32 s58, s52, s54
	s_addc_u32 s59, s53, s55
	global_load_ubyte v1, v2, s[58:59]
	s_add_u32 s54, s54, 1
	s_addc_u32 s55, s55, 0
	s_waitcnt vmcnt(0)
	v_and_b32_e32 v1, 0xffff, v1
	v_lshlrev_b64 v[3:4], s4, v[1:2]
	s_add_u32 s4, s4, 8
	s_addc_u32 s5, s5, 0
	v_or_b32_e32 v15, v3, v15
	s_cmp_lg_u32 s57, s54
	v_or_b32_e32 v16, v4, v16
	s_cbranch_scc1 .LBB5_922
	s_branch .LBB5_925
.LBB5_923:                              ;   in Loop: Header=BB5_903 Depth=2
	s_mov_b32 s56, 0
	s_branch .LBB5_926
.LBB5_924:                              ;   in Loop: Header=BB5_903 Depth=2
	v_mov_b32_e32 v15, 0
	v_mov_b32_e32 v16, 0
.LBB5_925:                              ;   in Loop: Header=BB5_903 Depth=2
	s_mov_b64 s[4:5], s[52:53]
	s_mov_b32 s56, 0
	s_cbranch_execnz .LBB5_927
.LBB5_926:                              ;   in Loop: Header=BB5_903 Depth=2
	global_load_dwordx2 v[15:16], v2, s[52:53]
	s_add_i32 s56, s57, -8
.LBB5_927:                              ;   in Loop: Header=BB5_903 Depth=2
	s_add_u32 s52, s4, 8
	s_addc_u32 s53, s5, 0
	s_cmp_gt_u32 s56, 7
	s_cbranch_scc1 .LBB5_931
; %bb.928:                              ;   in Loop: Header=BB5_903 Depth=2
	s_cmp_eq_u32 s56, 0
	s_cbranch_scc1 .LBB5_932
; %bb.929:                              ;   in Loop: Header=BB5_903 Depth=2
	v_mov_b32_e32 v17, 0
	s_mov_b64 s[52:53], 0
	v_mov_b32_e32 v18, 0
	s_mov_b64 s[54:55], 0
.LBB5_930:                              ;   Parent Loop BB5_280 Depth=1
                                        ;     Parent Loop BB5_903 Depth=2
                                        ; =>    This Inner Loop Header: Depth=3
	s_add_u32 s58, s4, s54
	s_addc_u32 s59, s5, s55
	global_load_ubyte v1, v2, s[58:59]
	s_add_u32 s54, s54, 1
	s_addc_u32 s55, s55, 0
	s_waitcnt vmcnt(0)
	v_and_b32_e32 v1, 0xffff, v1
	v_lshlrev_b64 v[3:4], s52, v[1:2]
	s_add_u32 s52, s52, 8
	s_addc_u32 s53, s53, 0
	v_or_b32_e32 v17, v3, v17
	s_cmp_lg_u32 s56, s54
	v_or_b32_e32 v18, v4, v18
	s_cbranch_scc1 .LBB5_930
	s_branch .LBB5_933
.LBB5_931:                              ;   in Loop: Header=BB5_903 Depth=2
                                        ; implicit-def: $vgpr17_vgpr18
	s_mov_b32 s57, 0
	s_branch .LBB5_934
.LBB5_932:                              ;   in Loop: Header=BB5_903 Depth=2
	v_mov_b32_e32 v17, 0
	v_mov_b32_e32 v18, 0
.LBB5_933:                              ;   in Loop: Header=BB5_903 Depth=2
	s_mov_b64 s[52:53], s[4:5]
	s_mov_b32 s57, 0
	s_cbranch_execnz .LBB5_935
.LBB5_934:                              ;   in Loop: Header=BB5_903 Depth=2
	global_load_dwordx2 v[17:18], v2, s[4:5]
	s_add_i32 s57, s56, -8
.LBB5_935:                              ;   in Loop: Header=BB5_903 Depth=2
	s_add_u32 s4, s52, 8
	s_addc_u32 s5, s53, 0
	s_cmp_gt_u32 s57, 7
	s_cbranch_scc1 .LBB5_939
; %bb.936:                              ;   in Loop: Header=BB5_903 Depth=2
	s_cmp_eq_u32 s57, 0
	s_cbranch_scc1 .LBB5_940
; %bb.937:                              ;   in Loop: Header=BB5_903 Depth=2
	v_mov_b32_e32 v19, 0
	s_mov_b64 s[4:5], 0
	v_mov_b32_e32 v20, 0
	s_mov_b64 s[54:55], 0
.LBB5_938:                              ;   Parent Loop BB5_280 Depth=1
                                        ;     Parent Loop BB5_903 Depth=2
                                        ; =>    This Inner Loop Header: Depth=3
	s_add_u32 s58, s52, s54
	s_addc_u32 s59, s53, s55
	global_load_ubyte v1, v2, s[58:59]
	s_add_u32 s54, s54, 1
	s_addc_u32 s55, s55, 0
	s_waitcnt vmcnt(0)
	v_and_b32_e32 v1, 0xffff, v1
	v_lshlrev_b64 v[3:4], s4, v[1:2]
	s_add_u32 s4, s4, 8
	s_addc_u32 s5, s5, 0
	v_or_b32_e32 v19, v3, v19
	s_cmp_lg_u32 s57, s54
	v_or_b32_e32 v20, v4, v20
	s_cbranch_scc1 .LBB5_938
	s_branch .LBB5_941
.LBB5_939:                              ;   in Loop: Header=BB5_903 Depth=2
	s_mov_b32 s56, 0
	s_branch .LBB5_942
.LBB5_940:                              ;   in Loop: Header=BB5_903 Depth=2
	v_mov_b32_e32 v19, 0
	v_mov_b32_e32 v20, 0
.LBB5_941:                              ;   in Loop: Header=BB5_903 Depth=2
	s_mov_b64 s[4:5], s[52:53]
	s_mov_b32 s56, 0
	s_cbranch_execnz .LBB5_943
.LBB5_942:                              ;   in Loop: Header=BB5_903 Depth=2
	global_load_dwordx2 v[19:20], v2, s[52:53]
	s_add_i32 s56, s57, -8
.LBB5_943:                              ;   in Loop: Header=BB5_903 Depth=2
	s_add_u32 s52, s4, 8
	s_addc_u32 s53, s5, 0
	s_cmp_gt_u32 s56, 7
	s_cbranch_scc1 .LBB5_947
; %bb.944:                              ;   in Loop: Header=BB5_903 Depth=2
	s_cmp_eq_u32 s56, 0
	s_cbranch_scc1 .LBB5_948
; %bb.945:                              ;   in Loop: Header=BB5_903 Depth=2
	v_mov_b32_e32 v21, 0
	s_mov_b64 s[52:53], 0
	v_mov_b32_e32 v22, 0
	s_mov_b64 s[54:55], 0
.LBB5_946:                              ;   Parent Loop BB5_280 Depth=1
                                        ;     Parent Loop BB5_903 Depth=2
                                        ; =>    This Inner Loop Header: Depth=3
	s_add_u32 s58, s4, s54
	s_addc_u32 s59, s5, s55
	global_load_ubyte v1, v2, s[58:59]
	s_add_u32 s54, s54, 1
	s_addc_u32 s55, s55, 0
	s_waitcnt vmcnt(0)
	v_and_b32_e32 v1, 0xffff, v1
	v_lshlrev_b64 v[3:4], s52, v[1:2]
	s_add_u32 s52, s52, 8
	s_addc_u32 s53, s53, 0
	v_or_b32_e32 v21, v3, v21
	s_cmp_lg_u32 s56, s54
	v_or_b32_e32 v22, v4, v22
	s_cbranch_scc1 .LBB5_946
	s_branch .LBB5_949
.LBB5_947:                              ;   in Loop: Header=BB5_903 Depth=2
                                        ; implicit-def: $vgpr21_vgpr22
	s_mov_b32 s57, 0
	s_branch .LBB5_950
.LBB5_948:                              ;   in Loop: Header=BB5_903 Depth=2
	v_mov_b32_e32 v21, 0
	v_mov_b32_e32 v22, 0
.LBB5_949:                              ;   in Loop: Header=BB5_903 Depth=2
	s_mov_b64 s[52:53], s[4:5]
	s_mov_b32 s57, 0
	s_cbranch_execnz .LBB5_951
.LBB5_950:                              ;   in Loop: Header=BB5_903 Depth=2
	global_load_dwordx2 v[21:22], v2, s[4:5]
	s_add_i32 s57, s56, -8
.LBB5_951:                              ;   in Loop: Header=BB5_903 Depth=2
	s_cmp_gt_u32 s57, 7
	s_cbranch_scc1 .LBB5_955
; %bb.952:                              ;   in Loop: Header=BB5_903 Depth=2
	s_cmp_eq_u32 s57, 0
	s_cbranch_scc1 .LBB5_956
; %bb.953:                              ;   in Loop: Header=BB5_903 Depth=2
	v_mov_b32_e32 v23, 0
	s_mov_b64 s[4:5], 0
	v_mov_b32_e32 v24, 0
	s_mov_b64 s[54:55], s[52:53]
.LBB5_954:                              ;   Parent Loop BB5_280 Depth=1
                                        ;     Parent Loop BB5_903 Depth=2
                                        ; =>    This Inner Loop Header: Depth=3
	global_load_ubyte v1, v2, s[54:55]
	s_add_i32 s57, s57, -1
	s_waitcnt vmcnt(0)
	v_and_b32_e32 v1, 0xffff, v1
	v_lshlrev_b64 v[3:4], s4, v[1:2]
	s_add_u32 s4, s4, 8
	s_addc_u32 s5, s5, 0
	s_add_u32 s54, s54, 1
	s_addc_u32 s55, s55, 0
	v_or_b32_e32 v23, v3, v23
	s_cmp_lg_u32 s57, 0
	v_or_b32_e32 v24, v4, v24
	s_cbranch_scc1 .LBB5_954
	s_branch .LBB5_957
.LBB5_955:                              ;   in Loop: Header=BB5_903 Depth=2
	s_branch .LBB5_958
.LBB5_956:                              ;   in Loop: Header=BB5_903 Depth=2
	v_mov_b32_e32 v23, 0
	v_mov_b32_e32 v24, 0
.LBB5_957:                              ;   in Loop: Header=BB5_903 Depth=2
	s_cbranch_execnz .LBB5_959
.LBB5_958:                              ;   in Loop: Header=BB5_903 Depth=2
	global_load_dwordx2 v[23:24], v2, s[52:53]
.LBB5_959:                              ;   in Loop: Header=BB5_903 Depth=2
	v_readfirstlane_b32 s4, v45
	v_mov_b32_e32 v3, 0
	v_mov_b32_e32 v4, 0
	v_cmp_eq_u32_e64 s[4:5], s4, v45
	s_and_saveexec_b64 s[52:53], s[4:5]
	s_cbranch_execz .LBB5_965
; %bb.960:                              ;   in Loop: Header=BB5_903 Depth=2
	global_load_dwordx2 v[27:28], v2, s[34:35] offset:24 glc
	s_waitcnt vmcnt(0)
	buffer_wbinvl1_vol
	global_load_dwordx2 v[3:4], v2, s[34:35] offset:40
	global_load_dwordx2 v[25:26], v2, s[34:35]
	s_waitcnt vmcnt(1)
	v_and_b32_e32 v1, v3, v27
	v_and_b32_e32 v3, v4, v28
	v_mul_lo_u32 v3, v3, 24
	v_mul_hi_u32 v4, v1, 24
	v_mul_lo_u32 v1, v1, 24
	v_add_u32_e32 v4, v4, v3
	s_waitcnt vmcnt(0)
	v_add_co_u32_e32 v3, vcc, v25, v1
	v_addc_co_u32_e32 v4, vcc, v26, v4, vcc
	global_load_dwordx2 v[25:26], v[3:4], off glc
	s_waitcnt vmcnt(0)
	global_atomic_cmpswap_x2 v[3:4], v2, v[25:28], s[34:35] offset:24 glc
	s_waitcnt vmcnt(0)
	buffer_wbinvl1_vol
	v_cmp_ne_u64_e32 vcc, v[3:4], v[27:28]
	s_and_saveexec_b64 s[54:55], vcc
	s_cbranch_execz .LBB5_964
; %bb.961:                              ;   in Loop: Header=BB5_903 Depth=2
	s_mov_b64 s[56:57], 0
.LBB5_962:                              ;   Parent Loop BB5_280 Depth=1
                                        ;     Parent Loop BB5_903 Depth=2
                                        ; =>    This Inner Loop Header: Depth=3
	s_sleep 1
	global_load_dwordx2 v[25:26], v2, s[34:35] offset:40
	global_load_dwordx2 v[29:30], v2, s[34:35]
	v_mov_b32_e32 v28, v4
	v_mov_b32_e32 v27, v3
	s_waitcnt vmcnt(1)
	v_and_b32_e32 v1, v25, v27
	s_waitcnt vmcnt(0)
	v_mad_u64_u32 v[3:4], s[58:59], v1, 24, v[29:30]
	v_and_b32_e32 v25, v26, v28
	v_mov_b32_e32 v1, v4
	v_mad_u64_u32 v[25:26], s[58:59], v25, 24, v[1:2]
	v_mov_b32_e32 v4, v25
	global_load_dwordx2 v[25:26], v[3:4], off glc
	s_waitcnt vmcnt(0)
	global_atomic_cmpswap_x2 v[3:4], v2, v[25:28], s[34:35] offset:24 glc
	s_waitcnt vmcnt(0)
	buffer_wbinvl1_vol
	v_cmp_eq_u64_e32 vcc, v[3:4], v[27:28]
	s_or_b64 s[56:57], vcc, s[56:57]
	s_andn2_b64 exec, exec, s[56:57]
	s_cbranch_execnz .LBB5_962
; %bb.963:                              ;   in Loop: Header=BB5_903 Depth=2
	s_or_b64 exec, exec, s[56:57]
.LBB5_964:                              ;   in Loop: Header=BB5_903 Depth=2
	s_or_b64 exec, exec, s[54:55]
.LBB5_965:                              ;   in Loop: Header=BB5_903 Depth=2
	s_or_b64 exec, exec, s[52:53]
	global_load_dwordx2 v[29:30], v2, s[34:35] offset:40
	global_load_dwordx4 v[25:28], v2, s[34:35]
	v_readfirstlane_b32 s53, v4
	v_readfirstlane_b32 s52, v3
	s_mov_b64 s[54:55], exec
	s_waitcnt vmcnt(1)
	v_readfirstlane_b32 s56, v29
	v_readfirstlane_b32 s57, v30
	s_and_b64 s[56:57], s[56:57], s[52:53]
	s_mul_i32 s58, s57, 24
	s_mul_hi_u32 s59, s56, 24
	s_mul_i32 s62, s56, 24
	s_add_i32 s58, s59, s58
	v_mov_b32_e32 v1, s58
	s_waitcnt vmcnt(0)
	v_add_co_u32_e32 v29, vcc, s62, v25
	v_addc_co_u32_e32 v30, vcc, v26, v1, vcc
	s_and_saveexec_b64 s[58:59], s[4:5]
	s_cbranch_execz .LBB5_967
; %bb.966:                              ;   in Loop: Header=BB5_903 Depth=2
	v_mov_b32_e32 v3, s54
	v_mov_b32_e32 v4, s55
	global_store_dwordx4 v[29:30], v[3:6], off offset:8
.LBB5_967:                              ;   in Loop: Header=BB5_903 Depth=2
	s_or_b64 exec, exec, s[58:59]
	s_lshl_b64 s[54:55], s[56:57], 12
	v_mov_b32_e32 v1, s55
	v_add_co_u32_e32 v27, vcc, s54, v27
	v_addc_co_u32_e32 v28, vcc, v28, v1, vcc
	v_cmp_lt_u64_e64 vcc, s[28:29], 57
	s_lshl_b32 s54, s30, 2
	v_cndmask_b32_e32 v1, 0, v31, vcc
	s_add_i32 s54, s54, 28
	v_and_b32_e32 v3, 0xffffff1f, v7
	s_and_b32 s54, s54, 0x1e0
	v_or_b32_e32 v1, v3, v1
	v_or_b32_e32 v7, s54, v1
	v_readfirstlane_b32 s54, v27
	v_readfirstlane_b32 s55, v28
	s_nop 4
	global_store_dwordx4 v44, v[7:10], s[54:55]
	global_store_dwordx4 v44, v[13:16], s[54:55] offset:16
	global_store_dwordx4 v44, v[17:20], s[54:55] offset:32
	;; [unrolled: 1-line block ×3, first 2 shown]
	s_and_saveexec_b64 s[54:55], s[4:5]
	s_cbranch_execz .LBB5_975
; %bb.968:                              ;   in Loop: Header=BB5_903 Depth=2
	global_load_dwordx2 v[15:16], v2, s[34:35] offset:32 glc
	global_load_dwordx2 v[3:4], v2, s[34:35] offset:40
	v_mov_b32_e32 v13, s52
	v_mov_b32_e32 v14, s53
	s_waitcnt vmcnt(0)
	v_readfirstlane_b32 s56, v3
	v_readfirstlane_b32 s57, v4
	s_and_b64 s[56:57], s[56:57], s[52:53]
	s_mul_i32 s57, s57, 24
	s_mul_hi_u32 s58, s56, 24
	s_mul_i32 s56, s56, 24
	s_add_i32 s57, s58, s57
	v_mov_b32_e32 v1, s57
	v_add_co_u32_e32 v3, vcc, s56, v25
	v_addc_co_u32_e32 v4, vcc, v26, v1, vcc
	global_store_dwordx2 v[3:4], v[15:16], off
	s_waitcnt vmcnt(0)
	global_atomic_cmpswap_x2 v[9:10], v2, v[13:16], s[34:35] offset:32 glc
	s_waitcnt vmcnt(0)
	v_cmp_ne_u64_e32 vcc, v[9:10], v[15:16]
	s_and_saveexec_b64 s[56:57], vcc
	s_cbranch_execz .LBB5_971
; %bb.969:                              ;   in Loop: Header=BB5_903 Depth=2
	s_mov_b64 s[58:59], 0
.LBB5_970:                              ;   Parent Loop BB5_280 Depth=1
                                        ;     Parent Loop BB5_903 Depth=2
                                        ; =>    This Inner Loop Header: Depth=3
	s_sleep 1
	global_store_dwordx2 v[3:4], v[9:10], off
	v_mov_b32_e32 v7, s52
	v_mov_b32_e32 v8, s53
	s_waitcnt vmcnt(0)
	global_atomic_cmpswap_x2 v[7:8], v2, v[7:10], s[34:35] offset:32 glc
	s_waitcnt vmcnt(0)
	v_cmp_eq_u64_e32 vcc, v[7:8], v[9:10]
	v_mov_b32_e32 v10, v8
	s_or_b64 s[58:59], vcc, s[58:59]
	v_mov_b32_e32 v9, v7
	s_andn2_b64 exec, exec, s[58:59]
	s_cbranch_execnz .LBB5_970
.LBB5_971:                              ;   in Loop: Header=BB5_903 Depth=2
	s_or_b64 exec, exec, s[56:57]
	global_load_dwordx2 v[3:4], v2, s[34:35] offset:16
	s_mov_b64 s[58:59], exec
	v_mbcnt_lo_u32_b32 v1, s58, 0
	v_mbcnt_hi_u32_b32 v1, s59, v1
	v_cmp_eq_u32_e32 vcc, 0, v1
	s_and_saveexec_b64 s[56:57], vcc
	s_cbranch_execz .LBB5_973
; %bb.972:                              ;   in Loop: Header=BB5_903 Depth=2
	s_bcnt1_i32_b64 s58, s[58:59]
	v_mov_b32_e32 v1, s58
	s_waitcnt vmcnt(0)
	global_atomic_add_x2 v[3:4], v[1:2], off offset:8
.LBB5_973:                              ;   in Loop: Header=BB5_903 Depth=2
	s_or_b64 exec, exec, s[56:57]
	s_waitcnt vmcnt(0)
	global_load_dwordx2 v[7:8], v[3:4], off offset:16
	s_waitcnt vmcnt(0)
	v_cmp_eq_u64_e32 vcc, 0, v[7:8]
	s_cbranch_vccnz .LBB5_975
; %bb.974:                              ;   in Loop: Header=BB5_903 Depth=2
	global_load_dword v1, v[3:4], off offset:24
	s_waitcnt vmcnt(0)
	v_readfirstlane_b32 s56, v1
	s_and_b32 m0, s56, 0xffffff
	global_store_dwordx2 v[7:8], v[1:2], off
	s_sendmsg sendmsg(MSG_INTERRUPT)
.LBB5_975:                              ;   in Loop: Header=BB5_903 Depth=2
	s_or_b64 exec, exec, s[54:55]
	v_add_co_u32_e32 v3, vcc, v27, v44
	v_addc_co_u32_e32 v4, vcc, 0, v28, vcc
	s_branch .LBB5_979
.LBB5_976:                              ;   in Loop: Header=BB5_979 Depth=3
	s_or_b64 exec, exec, s[54:55]
	v_readfirstlane_b32 s54, v1
	s_cmp_eq_u32 s54, 0
	s_cbranch_scc1 .LBB5_978
; %bb.977:                              ;   in Loop: Header=BB5_979 Depth=3
	s_sleep 1
	s_cbranch_execnz .LBB5_979
	s_branch .LBB5_981
.LBB5_978:                              ;   in Loop: Header=BB5_903 Depth=2
	s_branch .LBB5_981
.LBB5_979:                              ;   Parent Loop BB5_280 Depth=1
                                        ;     Parent Loop BB5_903 Depth=2
                                        ; =>    This Inner Loop Header: Depth=3
	v_mov_b32_e32 v1, 1
	s_and_saveexec_b64 s[54:55], s[4:5]
	s_cbranch_execz .LBB5_976
; %bb.980:                              ;   in Loop: Header=BB5_979 Depth=3
	global_load_dword v1, v[29:30], off offset:20 glc
	s_waitcnt vmcnt(0)
	buffer_wbinvl1_vol
	v_and_b32_e32 v1, 1, v1
	s_branch .LBB5_976
.LBB5_981:                              ;   in Loop: Header=BB5_903 Depth=2
	global_load_dwordx2 v[7:8], v[3:4], off
	s_and_saveexec_b64 s[54:55], s[4:5]
	s_cbranch_execz .LBB5_902
; %bb.982:                              ;   in Loop: Header=BB5_903 Depth=2
	global_load_dwordx2 v[3:4], v2, s[34:35] offset:40
	global_load_dwordx2 v[17:18], v2, s[34:35] offset:24 glc
	global_load_dwordx2 v[9:10], v2, s[34:35]
	s_waitcnt vmcnt(2)
	v_readfirstlane_b32 s56, v3
	v_readfirstlane_b32 s57, v4
	s_add_u32 s58, s56, 1
	s_addc_u32 s59, s57, 0
	s_add_u32 s4, s58, s52
	s_addc_u32 s5, s59, s53
	s_cmp_eq_u64 s[4:5], 0
	s_cselect_b32 s5, s59, s5
	s_cselect_b32 s4, s58, s4
	s_and_b64 s[52:53], s[4:5], s[56:57]
	s_mul_i32 s53, s53, 24
	s_mul_hi_u32 s56, s52, 24
	s_mul_i32 s52, s52, 24
	s_add_i32 s53, s56, s53
	v_mov_b32_e32 v1, s53
	s_waitcnt vmcnt(0)
	v_add_co_u32_e32 v3, vcc, s52, v9
	v_addc_co_u32_e32 v4, vcc, v10, v1, vcc
	v_mov_b32_e32 v15, s4
	global_store_dwordx2 v[3:4], v[17:18], off
	v_mov_b32_e32 v16, s5
	s_waitcnt vmcnt(0)
	global_atomic_cmpswap_x2 v[15:16], v2, v[15:18], s[34:35] offset:24 glc
	s_waitcnt vmcnt(0)
	v_cmp_ne_u64_e32 vcc, v[15:16], v[17:18]
	s_and_b64 exec, exec, vcc
	s_cbranch_execz .LBB5_902
; %bb.983:                              ;   in Loop: Header=BB5_903 Depth=2
	s_mov_b64 s[52:53], 0
.LBB5_984:                              ;   Parent Loop BB5_280 Depth=1
                                        ;     Parent Loop BB5_903 Depth=2
                                        ; =>    This Inner Loop Header: Depth=3
	s_sleep 1
	global_store_dwordx2 v[3:4], v[15:16], off
	v_mov_b32_e32 v13, s4
	v_mov_b32_e32 v14, s5
	s_waitcnt vmcnt(0)
	global_atomic_cmpswap_x2 v[9:10], v2, v[13:16], s[34:35] offset:24 glc
	s_waitcnt vmcnt(0)
	v_cmp_eq_u64_e32 vcc, v[9:10], v[15:16]
	v_mov_b32_e32 v16, v10
	s_or_b64 s[52:53], vcc, s[52:53]
	v_mov_b32_e32 v15, v9
	s_andn2_b64 exec, exec, s[52:53]
	s_cbranch_execnz .LBB5_984
	s_branch .LBB5_902
.LBB5_985:                              ;   in Loop: Header=BB5_280 Depth=1
	s_branch .LBB5_1015
.LBB5_986:                              ;   in Loop: Header=BB5_280 Depth=1
	s_cbranch_execnz .LBB5_1160
	s_branch .LBB5_1300
.LBB5_987:                              ;   in Loop: Header=BB5_280 Depth=1
                                        ; implicit-def: $vgpr7_vgpr8
	s_cbranch_execz .LBB5_1015
; %bb.988:                              ;   in Loop: Header=BB5_280 Depth=1
	v_readfirstlane_b32 s4, v45
	v_mov_b32_e32 v3, 0
	v_mov_b32_e32 v4, 0
	v_cmp_eq_u32_e64 s[4:5], s4, v45
	s_and_saveexec_b64 s[24:25], s[4:5]
	s_cbranch_execz .LBB5_994
; %bb.989:                              ;   in Loop: Header=BB5_280 Depth=1
	global_load_dwordx2 v[9:10], v2, s[34:35] offset:24 glc
	s_waitcnt vmcnt(0)
	buffer_wbinvl1_vol
	global_load_dwordx2 v[3:4], v2, s[34:35] offset:40
	global_load_dwordx2 v[7:8], v2, s[34:35]
	s_waitcnt vmcnt(1)
	v_and_b32_e32 v1, v3, v9
	v_and_b32_e32 v3, v4, v10
	v_mul_lo_u32 v3, v3, 24
	v_mul_hi_u32 v4, v1, 24
	v_mul_lo_u32 v1, v1, 24
	v_add_u32_e32 v4, v4, v3
	s_waitcnt vmcnt(0)
	v_add_co_u32_e32 v3, vcc, v7, v1
	v_addc_co_u32_e32 v4, vcc, v8, v4, vcc
	global_load_dwordx2 v[7:8], v[3:4], off glc
	s_waitcnt vmcnt(0)
	global_atomic_cmpswap_x2 v[3:4], v2, v[7:10], s[34:35] offset:24 glc
	s_waitcnt vmcnt(0)
	buffer_wbinvl1_vol
	v_cmp_ne_u64_e32 vcc, v[3:4], v[9:10]
	s_and_saveexec_b64 s[28:29], vcc
	s_cbranch_execz .LBB5_993
; %bb.990:                              ;   in Loop: Header=BB5_280 Depth=1
	s_mov_b64 s[30:31], 0
.LBB5_991:                              ;   Parent Loop BB5_280 Depth=1
                                        ; =>  This Inner Loop Header: Depth=2
	s_sleep 1
	global_load_dwordx2 v[7:8], v2, s[34:35] offset:40
	global_load_dwordx2 v[13:14], v2, s[34:35]
	v_mov_b32_e32 v10, v4
	v_mov_b32_e32 v9, v3
	s_waitcnt vmcnt(1)
	v_and_b32_e32 v1, v7, v9
	s_waitcnt vmcnt(0)
	v_mad_u64_u32 v[3:4], s[52:53], v1, 24, v[13:14]
	v_and_b32_e32 v7, v8, v10
	v_mov_b32_e32 v1, v4
	v_mad_u64_u32 v[7:8], s[52:53], v7, 24, v[1:2]
	v_mov_b32_e32 v4, v7
	global_load_dwordx2 v[7:8], v[3:4], off glc
	s_waitcnt vmcnt(0)
	global_atomic_cmpswap_x2 v[3:4], v2, v[7:10], s[34:35] offset:24 glc
	s_waitcnt vmcnt(0)
	buffer_wbinvl1_vol
	v_cmp_eq_u64_e32 vcc, v[3:4], v[9:10]
	s_or_b64 s[30:31], vcc, s[30:31]
	s_andn2_b64 exec, exec, s[30:31]
	s_cbranch_execnz .LBB5_991
; %bb.992:                              ;   in Loop: Header=BB5_280 Depth=1
	s_or_b64 exec, exec, s[30:31]
.LBB5_993:                              ;   in Loop: Header=BB5_280 Depth=1
	s_or_b64 exec, exec, s[28:29]
.LBB5_994:                              ;   in Loop: Header=BB5_280 Depth=1
	s_or_b64 exec, exec, s[24:25]
	global_load_dwordx2 v[13:14], v2, s[34:35] offset:40
	global_load_dwordx4 v[7:10], v2, s[34:35]
	v_readfirstlane_b32 s25, v4
	v_readfirstlane_b32 s24, v3
	s_mov_b64 s[28:29], exec
	s_waitcnt vmcnt(1)
	v_readfirstlane_b32 s30, v13
	v_readfirstlane_b32 s31, v14
	s_and_b64 s[30:31], s[30:31], s[24:25]
	s_mul_i32 s52, s31, 24
	s_mul_hi_u32 s53, s30, 24
	s_mul_i32 s54, s30, 24
	s_add_i32 s52, s53, s52
	v_mov_b32_e32 v1, s52
	s_waitcnt vmcnt(0)
	v_add_co_u32_e32 v15, vcc, s54, v7
	v_addc_co_u32_e32 v16, vcc, v8, v1, vcc
	s_and_saveexec_b64 s[52:53], s[4:5]
	s_cbranch_execz .LBB5_996
; %bb.995:                              ;   in Loop: Header=BB5_280 Depth=1
	v_mov_b32_e32 v3, s28
	v_mov_b32_e32 v4, s29
	global_store_dwordx4 v[15:16], v[3:6], off offset:8
.LBB5_996:                              ;   in Loop: Header=BB5_280 Depth=1
	s_or_b64 exec, exec, s[52:53]
	s_lshl_b64 s[28:29], s[30:31], 12
	v_mov_b32_e32 v1, s29
	v_add_co_u32_e32 v17, vcc, s28, v9
	v_addc_co_u32_e32 v18, vcc, v10, v1, vcc
	v_and_or_b32 v11, v11, s33, 32
	v_mov_b32_e32 v13, v2
	v_mov_b32_e32 v14, v2
	v_readfirstlane_b32 s28, v17
	v_readfirstlane_b32 s29, v18
	s_nop 4
	global_store_dwordx4 v44, v[11:14], s[28:29]
	s_nop 0
	v_mov_b32_e32 v12, s11
	v_mov_b32_e32 v11, s10
	;; [unrolled: 1-line block ×4, first 2 shown]
	global_store_dwordx4 v44, v[9:12], s[28:29] offset:16
	global_store_dwordx4 v44, v[9:12], s[28:29] offset:32
	;; [unrolled: 1-line block ×3, first 2 shown]
	s_and_saveexec_b64 s[28:29], s[4:5]
	s_cbranch_execz .LBB5_1004
; %bb.997:                              ;   in Loop: Header=BB5_280 Depth=1
	global_load_dwordx2 v[11:12], v2, s[34:35] offset:32 glc
	global_load_dwordx2 v[3:4], v2, s[34:35] offset:40
	v_mov_b32_e32 v9, s24
	v_mov_b32_e32 v10, s25
	s_waitcnt vmcnt(0)
	v_readfirstlane_b32 s30, v3
	v_readfirstlane_b32 s31, v4
	s_and_b64 s[30:31], s[30:31], s[24:25]
	s_mul_i32 s31, s31, 24
	s_mul_hi_u32 s52, s30, 24
	s_mul_i32 s30, s30, 24
	s_add_i32 s31, s52, s31
	v_mov_b32_e32 v1, s31
	v_add_co_u32_e32 v3, vcc, s30, v7
	v_addc_co_u32_e32 v4, vcc, v8, v1, vcc
	global_store_dwordx2 v[3:4], v[11:12], off
	s_waitcnt vmcnt(0)
	global_atomic_cmpswap_x2 v[9:10], v2, v[9:12], s[34:35] offset:32 glc
	s_waitcnt vmcnt(0)
	v_cmp_ne_u64_e32 vcc, v[9:10], v[11:12]
	s_and_saveexec_b64 s[30:31], vcc
	s_cbranch_execz .LBB5_1000
; %bb.998:                              ;   in Loop: Header=BB5_280 Depth=1
	s_mov_b64 s[52:53], 0
.LBB5_999:                              ;   Parent Loop BB5_280 Depth=1
                                        ; =>  This Inner Loop Header: Depth=2
	s_sleep 1
	global_store_dwordx2 v[3:4], v[9:10], off
	v_mov_b32_e32 v7, s24
	v_mov_b32_e32 v8, s25
	s_waitcnt vmcnt(0)
	global_atomic_cmpswap_x2 v[7:8], v2, v[7:10], s[34:35] offset:32 glc
	s_waitcnt vmcnt(0)
	v_cmp_eq_u64_e32 vcc, v[7:8], v[9:10]
	v_mov_b32_e32 v10, v8
	s_or_b64 s[52:53], vcc, s[52:53]
	v_mov_b32_e32 v9, v7
	s_andn2_b64 exec, exec, s[52:53]
	s_cbranch_execnz .LBB5_999
.LBB5_1000:                             ;   in Loop: Header=BB5_280 Depth=1
	s_or_b64 exec, exec, s[30:31]
	global_load_dwordx2 v[3:4], v2, s[34:35] offset:16
	s_mov_b64 s[52:53], exec
	v_mbcnt_lo_u32_b32 v1, s52, 0
	v_mbcnt_hi_u32_b32 v1, s53, v1
	v_cmp_eq_u32_e32 vcc, 0, v1
	s_and_saveexec_b64 s[30:31], vcc
	s_cbranch_execz .LBB5_1002
; %bb.1001:                             ;   in Loop: Header=BB5_280 Depth=1
	s_bcnt1_i32_b64 s52, s[52:53]
	v_mov_b32_e32 v1, s52
	s_waitcnt vmcnt(0)
	global_atomic_add_x2 v[3:4], v[1:2], off offset:8
.LBB5_1002:                             ;   in Loop: Header=BB5_280 Depth=1
	s_or_b64 exec, exec, s[30:31]
	s_waitcnt vmcnt(0)
	global_load_dwordx2 v[7:8], v[3:4], off offset:16
	s_waitcnt vmcnt(0)
	v_cmp_eq_u64_e32 vcc, 0, v[7:8]
	s_cbranch_vccnz .LBB5_1004
; %bb.1003:                             ;   in Loop: Header=BB5_280 Depth=1
	global_load_dword v1, v[3:4], off offset:24
	s_waitcnt vmcnt(0)
	v_readfirstlane_b32 s30, v1
	s_and_b32 m0, s30, 0xffffff
	global_store_dwordx2 v[7:8], v[1:2], off
	s_sendmsg sendmsg(MSG_INTERRUPT)
.LBB5_1004:                             ;   in Loop: Header=BB5_280 Depth=1
	s_or_b64 exec, exec, s[28:29]
	v_add_co_u32_e32 v3, vcc, v17, v44
	v_addc_co_u32_e32 v4, vcc, 0, v18, vcc
	s_branch .LBB5_1008
.LBB5_1005:                             ;   in Loop: Header=BB5_1008 Depth=2
	s_or_b64 exec, exec, s[28:29]
	v_readfirstlane_b32 s28, v1
	s_cmp_eq_u32 s28, 0
	s_cbranch_scc1 .LBB5_1007
; %bb.1006:                             ;   in Loop: Header=BB5_1008 Depth=2
	s_sleep 1
	s_cbranch_execnz .LBB5_1008
	s_branch .LBB5_1010
.LBB5_1007:                             ;   in Loop: Header=BB5_280 Depth=1
	s_branch .LBB5_1010
.LBB5_1008:                             ;   Parent Loop BB5_280 Depth=1
                                        ; =>  This Inner Loop Header: Depth=2
	v_mov_b32_e32 v1, 1
	s_and_saveexec_b64 s[28:29], s[4:5]
	s_cbranch_execz .LBB5_1005
; %bb.1009:                             ;   in Loop: Header=BB5_1008 Depth=2
	global_load_dword v1, v[15:16], off offset:20 glc
	s_waitcnt vmcnt(0)
	buffer_wbinvl1_vol
	v_and_b32_e32 v1, 1, v1
	s_branch .LBB5_1005
.LBB5_1010:                             ;   in Loop: Header=BB5_280 Depth=1
	global_load_dwordx2 v[7:8], v[3:4], off
	s_and_saveexec_b64 s[28:29], s[4:5]
	s_cbranch_execz .LBB5_1014
; %bb.1011:                             ;   in Loop: Header=BB5_280 Depth=1
	global_load_dwordx2 v[3:4], v2, s[34:35] offset:40
	global_load_dwordx2 v[13:14], v2, s[34:35] offset:24 glc
	global_load_dwordx2 v[9:10], v2, s[34:35]
	s_waitcnt vmcnt(2)
	v_readfirstlane_b32 s30, v3
	v_readfirstlane_b32 s31, v4
	s_add_u32 s52, s30, 1
	s_addc_u32 s53, s31, 0
	s_add_u32 s4, s52, s24
	s_addc_u32 s5, s53, s25
	s_cmp_eq_u64 s[4:5], 0
	s_cselect_b32 s5, s53, s5
	s_cselect_b32 s4, s52, s4
	s_and_b64 s[24:25], s[4:5], s[30:31]
	s_mul_i32 s25, s25, 24
	s_mul_hi_u32 s30, s24, 24
	s_mul_i32 s24, s24, 24
	s_add_i32 s25, s30, s25
	v_mov_b32_e32 v1, s25
	s_waitcnt vmcnt(0)
	v_add_co_u32_e32 v3, vcc, s24, v9
	v_addc_co_u32_e32 v4, vcc, v10, v1, vcc
	v_mov_b32_e32 v11, s4
	global_store_dwordx2 v[3:4], v[13:14], off
	v_mov_b32_e32 v12, s5
	s_waitcnt vmcnt(0)
	global_atomic_cmpswap_x2 v[11:12], v2, v[11:14], s[34:35] offset:24 glc
	s_waitcnt vmcnt(0)
	v_cmp_ne_u64_e32 vcc, v[11:12], v[13:14]
	s_and_b64 exec, exec, vcc
	s_cbranch_execz .LBB5_1014
; %bb.1012:                             ;   in Loop: Header=BB5_280 Depth=1
	s_mov_b64 s[24:25], 0
.LBB5_1013:                             ;   Parent Loop BB5_280 Depth=1
                                        ; =>  This Inner Loop Header: Depth=2
	s_sleep 1
	global_store_dwordx2 v[3:4], v[11:12], off
	v_mov_b32_e32 v9, s4
	v_mov_b32_e32 v10, s5
	s_waitcnt vmcnt(0)
	global_atomic_cmpswap_x2 v[9:10], v2, v[9:12], s[34:35] offset:24 glc
	s_waitcnt vmcnt(0)
	v_cmp_eq_u64_e32 vcc, v[9:10], v[11:12]
	v_mov_b32_e32 v12, v10
	s_or_b64 s[24:25], vcc, s[24:25]
	v_mov_b32_e32 v11, v9
	s_andn2_b64 exec, exec, s[24:25]
	s_cbranch_execnz .LBB5_1013
.LBB5_1014:                             ;   in Loop: Header=BB5_280 Depth=1
	s_or_b64 exec, exec, s[28:29]
.LBB5_1015:                             ;   in Loop: Header=BB5_280 Depth=1
	s_and_b32 s28, s61, 1
	s_getpc_b64 s[4:5]
	s_add_u32 s4, s4, .str.5@rel32@lo+4
	s_addc_u32 s5, s5, .str.5@rel32@hi+12
	s_getpc_b64 s[24:25]
	s_add_u32 s24, s24, .str.4@rel32@lo+4
	s_addc_u32 s25, s25, .str.4@rel32@hi+12
	s_cmp_eq_u32 s28, 0
	s_cselect_b32 s25, s5, s25
	s_cselect_b32 s24, s4, s24
	s_cmp_lg_u64 s[24:25], 0
	s_cselect_b64 s[4:5], -1, 0
	s_cmp_eq_u64 s[24:25], 0
	s_mov_b64 s[28:29], 0
	s_cbranch_scc1 .LBB5_1019
; %bb.1016:                             ;   in Loop: Header=BB5_280 Depth=1
	s_add_u32 s28, s24, -1
	s_addc_u32 s29, s25, -1
.LBB5_1017:                             ;   Parent Loop BB5_280 Depth=1
                                        ; =>  This Inner Loop Header: Depth=2
	global_load_ubyte v1, v2, s[28:29] offset:1
	s_add_u32 s30, s28, 1
	s_addc_u32 s31, s29, 0
	s_mov_b64 s[28:29], s[30:31]
	s_waitcnt vmcnt(0)
	v_cmp_ne_u32_e32 vcc, 0, v1
	s_cbranch_vccnz .LBB5_1017
; %bb.1018:                             ;   in Loop: Header=BB5_280 Depth=1
	s_sub_u32 s28, s30, s24
	s_subb_u32 s29, s31, s25
	s_add_u32 s28, s28, 1
	s_addc_u32 s29, s29, 0
.LBB5_1019:                             ;   in Loop: Header=BB5_280 Depth=1
	s_and_b64 vcc, exec, s[4:5]
	s_cbranch_vccz .LBB5_1105
; %bb.1020:                             ;   in Loop: Header=BB5_280 Depth=1
	s_waitcnt vmcnt(0)
	v_and_b32_e32 v31, 2, v7
	v_and_b32_e32 v9, -3, v7
	v_mov_b32_e32 v10, v8
	s_branch .LBB5_1022
.LBB5_1021:                             ;   in Loop: Header=BB5_1022 Depth=2
	s_or_b64 exec, exec, s[54:55]
	s_sub_u32 s28, s28, s30
	s_subb_u32 s29, s29, s31
	s_add_u32 s24, s24, s30
	s_addc_u32 s25, s25, s31
	s_cmp_lg_u64 s[28:29], 0
	s_cbranch_scc0 .LBB5_1104
.LBB5_1022:                             ;   Parent Loop BB5_280 Depth=1
                                        ; =>  This Loop Header: Depth=2
                                        ;       Child Loop BB5_1025 Depth 3
                                        ;       Child Loop BB5_1033 Depth 3
	;; [unrolled: 1-line block ×11, first 2 shown]
	v_cmp_lt_u64_e64 s[4:5], s[28:29], 56
	v_cmp_gt_u64_e64 s[52:53], s[28:29], 7
	s_and_b64 s[4:5], s[4:5], exec
	s_cselect_b32 s31, s29, 0
	s_cselect_b32 s30, s28, 56
	s_add_u32 s4, s24, 8
	s_addc_u32 s5, s25, 0
	s_and_b64 vcc, exec, s[52:53]
	s_cbranch_vccnz .LBB5_1026
; %bb.1023:                             ;   in Loop: Header=BB5_1022 Depth=2
	s_cmp_eq_u64 s[28:29], 0
	s_cbranch_scc1 .LBB5_1027
; %bb.1024:                             ;   in Loop: Header=BB5_1022 Depth=2
	v_mov_b32_e32 v11, 0
	s_lshl_b64 s[4:5], s[30:31], 3
	s_mov_b64 s[52:53], 0
	v_mov_b32_e32 v12, 0
	s_mov_b64 s[54:55], s[24:25]
.LBB5_1025:                             ;   Parent Loop BB5_280 Depth=1
                                        ;     Parent Loop BB5_1022 Depth=2
                                        ; =>    This Inner Loop Header: Depth=3
	global_load_ubyte v1, v2, s[54:55]
	s_waitcnt vmcnt(0)
	v_and_b32_e32 v1, 0xffff, v1
	v_lshlrev_b64 v[3:4], s52, v[1:2]
	s_add_u32 s52, s52, 8
	s_addc_u32 s53, s53, 0
	s_add_u32 s54, s54, 1
	s_addc_u32 s55, s55, 0
	v_or_b32_e32 v11, v3, v11
	s_cmp_lg_u32 s4, s52
	v_or_b32_e32 v12, v4, v12
	s_cbranch_scc1 .LBB5_1025
	s_branch .LBB5_1028
.LBB5_1026:                             ;   in Loop: Header=BB5_1022 Depth=2
	s_mov_b32 s56, 0
	s_branch .LBB5_1029
.LBB5_1027:                             ;   in Loop: Header=BB5_1022 Depth=2
	v_mov_b32_e32 v11, 0
	v_mov_b32_e32 v12, 0
.LBB5_1028:                             ;   in Loop: Header=BB5_1022 Depth=2
	s_mov_b64 s[4:5], s[24:25]
	s_mov_b32 s56, 0
	s_cbranch_execnz .LBB5_1030
.LBB5_1029:                             ;   in Loop: Header=BB5_1022 Depth=2
	global_load_dwordx2 v[11:12], v2, s[24:25]
	s_add_i32 s56, s30, -8
.LBB5_1030:                             ;   in Loop: Header=BB5_1022 Depth=2
	s_add_u32 s52, s4, 8
	s_addc_u32 s53, s5, 0
	s_cmp_gt_u32 s56, 7
	s_cbranch_scc1 .LBB5_1034
; %bb.1031:                             ;   in Loop: Header=BB5_1022 Depth=2
	s_cmp_eq_u32 s56, 0
	s_cbranch_scc1 .LBB5_1035
; %bb.1032:                             ;   in Loop: Header=BB5_1022 Depth=2
	v_mov_b32_e32 v13, 0
	s_mov_b64 s[52:53], 0
	v_mov_b32_e32 v14, 0
	s_mov_b64 s[54:55], 0
.LBB5_1033:                             ;   Parent Loop BB5_280 Depth=1
                                        ;     Parent Loop BB5_1022 Depth=2
                                        ; =>    This Inner Loop Header: Depth=3
	s_add_u32 s58, s4, s54
	s_addc_u32 s59, s5, s55
	global_load_ubyte v1, v2, s[58:59]
	s_add_u32 s54, s54, 1
	s_addc_u32 s55, s55, 0
	s_waitcnt vmcnt(0)
	v_and_b32_e32 v1, 0xffff, v1
	v_lshlrev_b64 v[3:4], s52, v[1:2]
	s_add_u32 s52, s52, 8
	s_addc_u32 s53, s53, 0
	v_or_b32_e32 v13, v3, v13
	s_cmp_lg_u32 s56, s54
	v_or_b32_e32 v14, v4, v14
	s_cbranch_scc1 .LBB5_1033
	s_branch .LBB5_1036
.LBB5_1034:                             ;   in Loop: Header=BB5_1022 Depth=2
                                        ; implicit-def: $vgpr13_vgpr14
	s_mov_b32 s57, 0
	s_branch .LBB5_1037
.LBB5_1035:                             ;   in Loop: Header=BB5_1022 Depth=2
	v_mov_b32_e32 v13, 0
	v_mov_b32_e32 v14, 0
.LBB5_1036:                             ;   in Loop: Header=BB5_1022 Depth=2
	s_mov_b64 s[52:53], s[4:5]
	s_mov_b32 s57, 0
	s_cbranch_execnz .LBB5_1038
.LBB5_1037:                             ;   in Loop: Header=BB5_1022 Depth=2
	global_load_dwordx2 v[13:14], v2, s[4:5]
	s_add_i32 s57, s56, -8
.LBB5_1038:                             ;   in Loop: Header=BB5_1022 Depth=2
	s_add_u32 s4, s52, 8
	s_addc_u32 s5, s53, 0
	s_cmp_gt_u32 s57, 7
	s_cbranch_scc1 .LBB5_1042
; %bb.1039:                             ;   in Loop: Header=BB5_1022 Depth=2
	s_cmp_eq_u32 s57, 0
	s_cbranch_scc1 .LBB5_1043
; %bb.1040:                             ;   in Loop: Header=BB5_1022 Depth=2
	v_mov_b32_e32 v15, 0
	s_mov_b64 s[4:5], 0
	v_mov_b32_e32 v16, 0
	s_mov_b64 s[54:55], 0
.LBB5_1041:                             ;   Parent Loop BB5_280 Depth=1
                                        ;     Parent Loop BB5_1022 Depth=2
                                        ; =>    This Inner Loop Header: Depth=3
	s_add_u32 s58, s52, s54
	s_addc_u32 s59, s53, s55
	global_load_ubyte v1, v2, s[58:59]
	s_add_u32 s54, s54, 1
	s_addc_u32 s55, s55, 0
	s_waitcnt vmcnt(0)
	v_and_b32_e32 v1, 0xffff, v1
	v_lshlrev_b64 v[3:4], s4, v[1:2]
	s_add_u32 s4, s4, 8
	s_addc_u32 s5, s5, 0
	v_or_b32_e32 v15, v3, v15
	s_cmp_lg_u32 s57, s54
	v_or_b32_e32 v16, v4, v16
	s_cbranch_scc1 .LBB5_1041
	s_branch .LBB5_1044
.LBB5_1042:                             ;   in Loop: Header=BB5_1022 Depth=2
	s_mov_b32 s56, 0
	s_branch .LBB5_1045
.LBB5_1043:                             ;   in Loop: Header=BB5_1022 Depth=2
	v_mov_b32_e32 v15, 0
	v_mov_b32_e32 v16, 0
.LBB5_1044:                             ;   in Loop: Header=BB5_1022 Depth=2
	s_mov_b64 s[4:5], s[52:53]
	s_mov_b32 s56, 0
	s_cbranch_execnz .LBB5_1046
.LBB5_1045:                             ;   in Loop: Header=BB5_1022 Depth=2
	global_load_dwordx2 v[15:16], v2, s[52:53]
	s_add_i32 s56, s57, -8
.LBB5_1046:                             ;   in Loop: Header=BB5_1022 Depth=2
	s_add_u32 s52, s4, 8
	s_addc_u32 s53, s5, 0
	s_cmp_gt_u32 s56, 7
	s_cbranch_scc1 .LBB5_1050
; %bb.1047:                             ;   in Loop: Header=BB5_1022 Depth=2
	s_cmp_eq_u32 s56, 0
	s_cbranch_scc1 .LBB5_1051
; %bb.1048:                             ;   in Loop: Header=BB5_1022 Depth=2
	v_mov_b32_e32 v17, 0
	s_mov_b64 s[52:53], 0
	v_mov_b32_e32 v18, 0
	s_mov_b64 s[54:55], 0
.LBB5_1049:                             ;   Parent Loop BB5_280 Depth=1
                                        ;     Parent Loop BB5_1022 Depth=2
                                        ; =>    This Inner Loop Header: Depth=3
	s_add_u32 s58, s4, s54
	s_addc_u32 s59, s5, s55
	global_load_ubyte v1, v2, s[58:59]
	s_add_u32 s54, s54, 1
	s_addc_u32 s55, s55, 0
	s_waitcnt vmcnt(0)
	v_and_b32_e32 v1, 0xffff, v1
	v_lshlrev_b64 v[3:4], s52, v[1:2]
	s_add_u32 s52, s52, 8
	s_addc_u32 s53, s53, 0
	v_or_b32_e32 v17, v3, v17
	s_cmp_lg_u32 s56, s54
	v_or_b32_e32 v18, v4, v18
	s_cbranch_scc1 .LBB5_1049
	s_branch .LBB5_1052
.LBB5_1050:                             ;   in Loop: Header=BB5_1022 Depth=2
                                        ; implicit-def: $vgpr17_vgpr18
	s_mov_b32 s57, 0
	s_branch .LBB5_1053
.LBB5_1051:                             ;   in Loop: Header=BB5_1022 Depth=2
	v_mov_b32_e32 v17, 0
	v_mov_b32_e32 v18, 0
.LBB5_1052:                             ;   in Loop: Header=BB5_1022 Depth=2
	s_mov_b64 s[52:53], s[4:5]
	s_mov_b32 s57, 0
	s_cbranch_execnz .LBB5_1054
.LBB5_1053:                             ;   in Loop: Header=BB5_1022 Depth=2
	global_load_dwordx2 v[17:18], v2, s[4:5]
	s_add_i32 s57, s56, -8
.LBB5_1054:                             ;   in Loop: Header=BB5_1022 Depth=2
	s_add_u32 s4, s52, 8
	s_addc_u32 s5, s53, 0
	s_cmp_gt_u32 s57, 7
	s_cbranch_scc1 .LBB5_1058
; %bb.1055:                             ;   in Loop: Header=BB5_1022 Depth=2
	s_cmp_eq_u32 s57, 0
	s_cbranch_scc1 .LBB5_1059
; %bb.1056:                             ;   in Loop: Header=BB5_1022 Depth=2
	v_mov_b32_e32 v19, 0
	s_mov_b64 s[4:5], 0
	v_mov_b32_e32 v20, 0
	s_mov_b64 s[54:55], 0
.LBB5_1057:                             ;   Parent Loop BB5_280 Depth=1
                                        ;     Parent Loop BB5_1022 Depth=2
                                        ; =>    This Inner Loop Header: Depth=3
	s_add_u32 s58, s52, s54
	s_addc_u32 s59, s53, s55
	global_load_ubyte v1, v2, s[58:59]
	s_add_u32 s54, s54, 1
	s_addc_u32 s55, s55, 0
	s_waitcnt vmcnt(0)
	v_and_b32_e32 v1, 0xffff, v1
	v_lshlrev_b64 v[3:4], s4, v[1:2]
	s_add_u32 s4, s4, 8
	s_addc_u32 s5, s5, 0
	v_or_b32_e32 v19, v3, v19
	s_cmp_lg_u32 s57, s54
	v_or_b32_e32 v20, v4, v20
	s_cbranch_scc1 .LBB5_1057
	s_branch .LBB5_1060
.LBB5_1058:                             ;   in Loop: Header=BB5_1022 Depth=2
	s_mov_b32 s56, 0
	s_branch .LBB5_1061
.LBB5_1059:                             ;   in Loop: Header=BB5_1022 Depth=2
	v_mov_b32_e32 v19, 0
	v_mov_b32_e32 v20, 0
.LBB5_1060:                             ;   in Loop: Header=BB5_1022 Depth=2
	s_mov_b64 s[4:5], s[52:53]
	s_mov_b32 s56, 0
	s_cbranch_execnz .LBB5_1062
.LBB5_1061:                             ;   in Loop: Header=BB5_1022 Depth=2
	global_load_dwordx2 v[19:20], v2, s[52:53]
	s_add_i32 s56, s57, -8
.LBB5_1062:                             ;   in Loop: Header=BB5_1022 Depth=2
	s_add_u32 s52, s4, 8
	s_addc_u32 s53, s5, 0
	s_cmp_gt_u32 s56, 7
	s_cbranch_scc1 .LBB5_1066
; %bb.1063:                             ;   in Loop: Header=BB5_1022 Depth=2
	s_cmp_eq_u32 s56, 0
	s_cbranch_scc1 .LBB5_1067
; %bb.1064:                             ;   in Loop: Header=BB5_1022 Depth=2
	v_mov_b32_e32 v21, 0
	s_mov_b64 s[52:53], 0
	v_mov_b32_e32 v22, 0
	s_mov_b64 s[54:55], 0
.LBB5_1065:                             ;   Parent Loop BB5_280 Depth=1
                                        ;     Parent Loop BB5_1022 Depth=2
                                        ; =>    This Inner Loop Header: Depth=3
	s_add_u32 s58, s4, s54
	s_addc_u32 s59, s5, s55
	global_load_ubyte v1, v2, s[58:59]
	s_add_u32 s54, s54, 1
	s_addc_u32 s55, s55, 0
	s_waitcnt vmcnt(0)
	v_and_b32_e32 v1, 0xffff, v1
	v_lshlrev_b64 v[3:4], s52, v[1:2]
	s_add_u32 s52, s52, 8
	s_addc_u32 s53, s53, 0
	v_or_b32_e32 v21, v3, v21
	s_cmp_lg_u32 s56, s54
	v_or_b32_e32 v22, v4, v22
	s_cbranch_scc1 .LBB5_1065
	s_branch .LBB5_1068
.LBB5_1066:                             ;   in Loop: Header=BB5_1022 Depth=2
                                        ; implicit-def: $vgpr21_vgpr22
	s_mov_b32 s57, 0
	s_branch .LBB5_1069
.LBB5_1067:                             ;   in Loop: Header=BB5_1022 Depth=2
	v_mov_b32_e32 v21, 0
	v_mov_b32_e32 v22, 0
.LBB5_1068:                             ;   in Loop: Header=BB5_1022 Depth=2
	s_mov_b64 s[52:53], s[4:5]
	s_mov_b32 s57, 0
	s_cbranch_execnz .LBB5_1070
.LBB5_1069:                             ;   in Loop: Header=BB5_1022 Depth=2
	global_load_dwordx2 v[21:22], v2, s[4:5]
	s_add_i32 s57, s56, -8
.LBB5_1070:                             ;   in Loop: Header=BB5_1022 Depth=2
	s_cmp_gt_u32 s57, 7
	s_cbranch_scc1 .LBB5_1074
; %bb.1071:                             ;   in Loop: Header=BB5_1022 Depth=2
	s_cmp_eq_u32 s57, 0
	s_cbranch_scc1 .LBB5_1075
; %bb.1072:                             ;   in Loop: Header=BB5_1022 Depth=2
	v_mov_b32_e32 v23, 0
	s_mov_b64 s[4:5], 0
	v_mov_b32_e32 v24, 0
	s_mov_b64 s[54:55], s[52:53]
.LBB5_1073:                             ;   Parent Loop BB5_280 Depth=1
                                        ;     Parent Loop BB5_1022 Depth=2
                                        ; =>    This Inner Loop Header: Depth=3
	global_load_ubyte v1, v2, s[54:55]
	s_add_i32 s57, s57, -1
	s_waitcnt vmcnt(0)
	v_and_b32_e32 v1, 0xffff, v1
	v_lshlrev_b64 v[3:4], s4, v[1:2]
	s_add_u32 s4, s4, 8
	s_addc_u32 s5, s5, 0
	s_add_u32 s54, s54, 1
	s_addc_u32 s55, s55, 0
	v_or_b32_e32 v23, v3, v23
	s_cmp_lg_u32 s57, 0
	v_or_b32_e32 v24, v4, v24
	s_cbranch_scc1 .LBB5_1073
	s_branch .LBB5_1076
.LBB5_1074:                             ;   in Loop: Header=BB5_1022 Depth=2
	s_branch .LBB5_1077
.LBB5_1075:                             ;   in Loop: Header=BB5_1022 Depth=2
	v_mov_b32_e32 v23, 0
	v_mov_b32_e32 v24, 0
.LBB5_1076:                             ;   in Loop: Header=BB5_1022 Depth=2
	s_cbranch_execnz .LBB5_1078
.LBB5_1077:                             ;   in Loop: Header=BB5_1022 Depth=2
	global_load_dwordx2 v[23:24], v2, s[52:53]
.LBB5_1078:                             ;   in Loop: Header=BB5_1022 Depth=2
	v_readfirstlane_b32 s4, v45
	v_mov_b32_e32 v3, 0
	v_mov_b32_e32 v4, 0
	v_cmp_eq_u32_e64 s[4:5], s4, v45
	s_and_saveexec_b64 s[52:53], s[4:5]
	s_cbranch_execz .LBB5_1084
; %bb.1079:                             ;   in Loop: Header=BB5_1022 Depth=2
	global_load_dwordx2 v[27:28], v2, s[34:35] offset:24 glc
	s_waitcnt vmcnt(0)
	buffer_wbinvl1_vol
	global_load_dwordx2 v[3:4], v2, s[34:35] offset:40
	global_load_dwordx2 v[25:26], v2, s[34:35]
	s_waitcnt vmcnt(1)
	v_and_b32_e32 v1, v3, v27
	v_and_b32_e32 v3, v4, v28
	v_mul_lo_u32 v3, v3, 24
	v_mul_hi_u32 v4, v1, 24
	v_mul_lo_u32 v1, v1, 24
	v_add_u32_e32 v4, v4, v3
	s_waitcnt vmcnt(0)
	v_add_co_u32_e32 v3, vcc, v25, v1
	v_addc_co_u32_e32 v4, vcc, v26, v4, vcc
	global_load_dwordx2 v[25:26], v[3:4], off glc
	s_waitcnt vmcnt(0)
	global_atomic_cmpswap_x2 v[3:4], v2, v[25:28], s[34:35] offset:24 glc
	s_waitcnt vmcnt(0)
	buffer_wbinvl1_vol
	v_cmp_ne_u64_e32 vcc, v[3:4], v[27:28]
	s_and_saveexec_b64 s[54:55], vcc
	s_cbranch_execz .LBB5_1083
; %bb.1080:                             ;   in Loop: Header=BB5_1022 Depth=2
	s_mov_b64 s[56:57], 0
.LBB5_1081:                             ;   Parent Loop BB5_280 Depth=1
                                        ;     Parent Loop BB5_1022 Depth=2
                                        ; =>    This Inner Loop Header: Depth=3
	s_sleep 1
	global_load_dwordx2 v[25:26], v2, s[34:35] offset:40
	global_load_dwordx2 v[29:30], v2, s[34:35]
	v_mov_b32_e32 v28, v4
	v_mov_b32_e32 v27, v3
	s_waitcnt vmcnt(1)
	v_and_b32_e32 v1, v25, v27
	s_waitcnt vmcnt(0)
	v_mad_u64_u32 v[3:4], s[58:59], v1, 24, v[29:30]
	v_and_b32_e32 v25, v26, v28
	v_mov_b32_e32 v1, v4
	v_mad_u64_u32 v[25:26], s[58:59], v25, 24, v[1:2]
	v_mov_b32_e32 v4, v25
	global_load_dwordx2 v[25:26], v[3:4], off glc
	s_waitcnt vmcnt(0)
	global_atomic_cmpswap_x2 v[3:4], v2, v[25:28], s[34:35] offset:24 glc
	s_waitcnt vmcnt(0)
	buffer_wbinvl1_vol
	v_cmp_eq_u64_e32 vcc, v[3:4], v[27:28]
	s_or_b64 s[56:57], vcc, s[56:57]
	s_andn2_b64 exec, exec, s[56:57]
	s_cbranch_execnz .LBB5_1081
; %bb.1082:                             ;   in Loop: Header=BB5_1022 Depth=2
	s_or_b64 exec, exec, s[56:57]
.LBB5_1083:                             ;   in Loop: Header=BB5_1022 Depth=2
	s_or_b64 exec, exec, s[54:55]
.LBB5_1084:                             ;   in Loop: Header=BB5_1022 Depth=2
	s_or_b64 exec, exec, s[52:53]
	global_load_dwordx2 v[29:30], v2, s[34:35] offset:40
	global_load_dwordx4 v[25:28], v2, s[34:35]
	v_readfirstlane_b32 s53, v4
	v_readfirstlane_b32 s52, v3
	s_mov_b64 s[54:55], exec
	s_waitcnt vmcnt(1)
	v_readfirstlane_b32 s56, v29
	v_readfirstlane_b32 s57, v30
	s_and_b64 s[56:57], s[56:57], s[52:53]
	s_mul_i32 s58, s57, 24
	s_mul_hi_u32 s59, s56, 24
	s_mul_i32 s62, s56, 24
	s_add_i32 s58, s59, s58
	v_mov_b32_e32 v1, s58
	s_waitcnt vmcnt(0)
	v_add_co_u32_e32 v29, vcc, s62, v25
	v_addc_co_u32_e32 v30, vcc, v26, v1, vcc
	s_and_saveexec_b64 s[58:59], s[4:5]
	s_cbranch_execz .LBB5_1086
; %bb.1085:                             ;   in Loop: Header=BB5_1022 Depth=2
	v_mov_b32_e32 v3, s54
	v_mov_b32_e32 v4, s55
	global_store_dwordx4 v[29:30], v[3:6], off offset:8
.LBB5_1086:                             ;   in Loop: Header=BB5_1022 Depth=2
	s_or_b64 exec, exec, s[58:59]
	s_lshl_b64 s[54:55], s[56:57], 12
	v_mov_b32_e32 v1, s55
	v_add_co_u32_e32 v27, vcc, s54, v27
	v_addc_co_u32_e32 v28, vcc, v28, v1, vcc
	v_cmp_lt_u64_e64 vcc, s[28:29], 57
	s_lshl_b32 s54, s30, 2
	v_cndmask_b32_e32 v1, 0, v31, vcc
	s_add_i32 s54, s54, 28
	v_and_b32_e32 v3, 0xffffff1f, v9
	s_and_b32 s54, s54, 0x1e0
	v_or_b32_e32 v1, v3, v1
	v_or_b32_e32 v9, s54, v1
	v_readfirstlane_b32 s54, v27
	v_readfirstlane_b32 s55, v28
	s_nop 4
	global_store_dwordx4 v44, v[9:12], s[54:55]
	global_store_dwordx4 v44, v[13:16], s[54:55] offset:16
	global_store_dwordx4 v44, v[17:20], s[54:55] offset:32
	;; [unrolled: 1-line block ×3, first 2 shown]
	s_and_saveexec_b64 s[54:55], s[4:5]
	s_cbranch_execz .LBB5_1094
; %bb.1087:                             ;   in Loop: Header=BB5_1022 Depth=2
	global_load_dwordx2 v[13:14], v2, s[34:35] offset:32 glc
	global_load_dwordx2 v[3:4], v2, s[34:35] offset:40
	v_mov_b32_e32 v11, s52
	v_mov_b32_e32 v12, s53
	s_waitcnt vmcnt(0)
	v_readfirstlane_b32 s56, v3
	v_readfirstlane_b32 s57, v4
	s_and_b64 s[56:57], s[56:57], s[52:53]
	s_mul_i32 s57, s57, 24
	s_mul_hi_u32 s58, s56, 24
	s_mul_i32 s56, s56, 24
	s_add_i32 s57, s58, s57
	v_mov_b32_e32 v1, s57
	v_add_co_u32_e32 v3, vcc, s56, v25
	v_addc_co_u32_e32 v4, vcc, v26, v1, vcc
	global_store_dwordx2 v[3:4], v[13:14], off
	s_waitcnt vmcnt(0)
	global_atomic_cmpswap_x2 v[11:12], v2, v[11:14], s[34:35] offset:32 glc
	s_waitcnt vmcnt(0)
	v_cmp_ne_u64_e32 vcc, v[11:12], v[13:14]
	s_and_saveexec_b64 s[56:57], vcc
	s_cbranch_execz .LBB5_1090
; %bb.1088:                             ;   in Loop: Header=BB5_1022 Depth=2
	s_mov_b64 s[58:59], 0
.LBB5_1089:                             ;   Parent Loop BB5_280 Depth=1
                                        ;     Parent Loop BB5_1022 Depth=2
                                        ; =>    This Inner Loop Header: Depth=3
	s_sleep 1
	global_store_dwordx2 v[3:4], v[11:12], off
	v_mov_b32_e32 v9, s52
	v_mov_b32_e32 v10, s53
	s_waitcnt vmcnt(0)
	global_atomic_cmpswap_x2 v[9:10], v2, v[9:12], s[34:35] offset:32 glc
	s_waitcnt vmcnt(0)
	v_cmp_eq_u64_e32 vcc, v[9:10], v[11:12]
	v_mov_b32_e32 v12, v10
	s_or_b64 s[58:59], vcc, s[58:59]
	v_mov_b32_e32 v11, v9
	s_andn2_b64 exec, exec, s[58:59]
	s_cbranch_execnz .LBB5_1089
.LBB5_1090:                             ;   in Loop: Header=BB5_1022 Depth=2
	s_or_b64 exec, exec, s[56:57]
	global_load_dwordx2 v[3:4], v2, s[34:35] offset:16
	s_mov_b64 s[58:59], exec
	v_mbcnt_lo_u32_b32 v1, s58, 0
	v_mbcnt_hi_u32_b32 v1, s59, v1
	v_cmp_eq_u32_e32 vcc, 0, v1
	s_and_saveexec_b64 s[56:57], vcc
	s_cbranch_execz .LBB5_1092
; %bb.1091:                             ;   in Loop: Header=BB5_1022 Depth=2
	s_bcnt1_i32_b64 s58, s[58:59]
	v_mov_b32_e32 v1, s58
	s_waitcnt vmcnt(0)
	global_atomic_add_x2 v[3:4], v[1:2], off offset:8
.LBB5_1092:                             ;   in Loop: Header=BB5_1022 Depth=2
	s_or_b64 exec, exec, s[56:57]
	s_waitcnt vmcnt(0)
	global_load_dwordx2 v[9:10], v[3:4], off offset:16
	s_waitcnt vmcnt(0)
	v_cmp_eq_u64_e32 vcc, 0, v[9:10]
	s_cbranch_vccnz .LBB5_1094
; %bb.1093:                             ;   in Loop: Header=BB5_1022 Depth=2
	global_load_dword v1, v[3:4], off offset:24
	s_waitcnt vmcnt(0)
	v_readfirstlane_b32 s56, v1
	s_and_b32 m0, s56, 0xffffff
	global_store_dwordx2 v[9:10], v[1:2], off
	s_sendmsg sendmsg(MSG_INTERRUPT)
.LBB5_1094:                             ;   in Loop: Header=BB5_1022 Depth=2
	s_or_b64 exec, exec, s[54:55]
	v_add_co_u32_e32 v3, vcc, v27, v44
	v_addc_co_u32_e32 v4, vcc, 0, v28, vcc
	s_branch .LBB5_1098
.LBB5_1095:                             ;   in Loop: Header=BB5_1098 Depth=3
	s_or_b64 exec, exec, s[54:55]
	v_readfirstlane_b32 s54, v1
	s_cmp_eq_u32 s54, 0
	s_cbranch_scc1 .LBB5_1097
; %bb.1096:                             ;   in Loop: Header=BB5_1098 Depth=3
	s_sleep 1
	s_cbranch_execnz .LBB5_1098
	s_branch .LBB5_1100
.LBB5_1097:                             ;   in Loop: Header=BB5_1022 Depth=2
	s_branch .LBB5_1100
.LBB5_1098:                             ;   Parent Loop BB5_280 Depth=1
                                        ;     Parent Loop BB5_1022 Depth=2
                                        ; =>    This Inner Loop Header: Depth=3
	v_mov_b32_e32 v1, 1
	s_and_saveexec_b64 s[54:55], s[4:5]
	s_cbranch_execz .LBB5_1095
; %bb.1099:                             ;   in Loop: Header=BB5_1098 Depth=3
	global_load_dword v1, v[29:30], off offset:20 glc
	s_waitcnt vmcnt(0)
	buffer_wbinvl1_vol
	v_and_b32_e32 v1, 1, v1
	s_branch .LBB5_1095
.LBB5_1100:                             ;   in Loop: Header=BB5_1022 Depth=2
	global_load_dwordx2 v[9:10], v[3:4], off
	s_and_saveexec_b64 s[54:55], s[4:5]
	s_cbranch_execz .LBB5_1021
; %bb.1101:                             ;   in Loop: Header=BB5_1022 Depth=2
	global_load_dwordx2 v[3:4], v2, s[34:35] offset:40
	global_load_dwordx2 v[15:16], v2, s[34:35] offset:24 glc
	global_load_dwordx2 v[11:12], v2, s[34:35]
	s_waitcnt vmcnt(2)
	v_readfirstlane_b32 s56, v3
	v_readfirstlane_b32 s57, v4
	s_add_u32 s58, s56, 1
	s_addc_u32 s59, s57, 0
	s_add_u32 s4, s58, s52
	s_addc_u32 s5, s59, s53
	s_cmp_eq_u64 s[4:5], 0
	s_cselect_b32 s5, s59, s5
	s_cselect_b32 s4, s58, s4
	s_and_b64 s[52:53], s[4:5], s[56:57]
	s_mul_i32 s53, s53, 24
	s_mul_hi_u32 s56, s52, 24
	s_mul_i32 s52, s52, 24
	s_add_i32 s53, s56, s53
	v_mov_b32_e32 v1, s53
	s_waitcnt vmcnt(0)
	v_add_co_u32_e32 v3, vcc, s52, v11
	v_addc_co_u32_e32 v4, vcc, v12, v1, vcc
	v_mov_b32_e32 v13, s4
	global_store_dwordx2 v[3:4], v[15:16], off
	v_mov_b32_e32 v14, s5
	s_waitcnt vmcnt(0)
	global_atomic_cmpswap_x2 v[13:14], v2, v[13:16], s[34:35] offset:24 glc
	s_waitcnt vmcnt(0)
	v_cmp_ne_u64_e32 vcc, v[13:14], v[15:16]
	s_and_b64 exec, exec, vcc
	s_cbranch_execz .LBB5_1021
; %bb.1102:                             ;   in Loop: Header=BB5_1022 Depth=2
	s_mov_b64 s[52:53], 0
.LBB5_1103:                             ;   Parent Loop BB5_280 Depth=1
                                        ;     Parent Loop BB5_1022 Depth=2
                                        ; =>    This Inner Loop Header: Depth=3
	s_sleep 1
	global_store_dwordx2 v[3:4], v[13:14], off
	v_mov_b32_e32 v11, s4
	v_mov_b32_e32 v12, s5
	s_waitcnt vmcnt(0)
	global_atomic_cmpswap_x2 v[11:12], v2, v[11:14], s[34:35] offset:24 glc
	s_waitcnt vmcnt(0)
	v_cmp_eq_u64_e32 vcc, v[11:12], v[13:14]
	v_mov_b32_e32 v14, v12
	s_or_b64 s[52:53], vcc, s[52:53]
	v_mov_b32_e32 v13, v11
	s_andn2_b64 exec, exec, s[52:53]
	s_cbranch_execnz .LBB5_1103
	s_branch .LBB5_1021
.LBB5_1104:                             ;   in Loop: Header=BB5_280 Depth=1
	s_branch .LBB5_1133
.LBB5_1105:                             ;   in Loop: Header=BB5_280 Depth=1
                                        ; implicit-def: $vgpr9_vgpr10
	s_cbranch_execz .LBB5_1133
; %bb.1106:                             ;   in Loop: Header=BB5_280 Depth=1
	v_readfirstlane_b32 s4, v45
	v_mov_b32_e32 v3, 0
	v_mov_b32_e32 v4, 0
	v_cmp_eq_u32_e64 s[4:5], s4, v45
	s_and_saveexec_b64 s[24:25], s[4:5]
	s_cbranch_execz .LBB5_1112
; %bb.1107:                             ;   in Loop: Header=BB5_280 Depth=1
	global_load_dwordx2 v[11:12], v2, s[34:35] offset:24 glc
	s_waitcnt vmcnt(0)
	buffer_wbinvl1_vol
	global_load_dwordx2 v[3:4], v2, s[34:35] offset:40
	global_load_dwordx2 v[9:10], v2, s[34:35]
	s_waitcnt vmcnt(1)
	v_and_b32_e32 v1, v3, v11
	v_and_b32_e32 v3, v4, v12
	v_mul_lo_u32 v3, v3, 24
	v_mul_hi_u32 v4, v1, 24
	v_mul_lo_u32 v1, v1, 24
	v_add_u32_e32 v4, v4, v3
	s_waitcnt vmcnt(0)
	v_add_co_u32_e32 v3, vcc, v9, v1
	v_addc_co_u32_e32 v4, vcc, v10, v4, vcc
	global_load_dwordx2 v[9:10], v[3:4], off glc
	s_waitcnt vmcnt(0)
	global_atomic_cmpswap_x2 v[3:4], v2, v[9:12], s[34:35] offset:24 glc
	s_waitcnt vmcnt(0)
	buffer_wbinvl1_vol
	v_cmp_ne_u64_e32 vcc, v[3:4], v[11:12]
	s_and_saveexec_b64 s[28:29], vcc
	s_cbranch_execz .LBB5_1111
; %bb.1108:                             ;   in Loop: Header=BB5_280 Depth=1
	s_mov_b64 s[30:31], 0
.LBB5_1109:                             ;   Parent Loop BB5_280 Depth=1
                                        ; =>  This Inner Loop Header: Depth=2
	s_sleep 1
	global_load_dwordx2 v[9:10], v2, s[34:35] offset:40
	global_load_dwordx2 v[13:14], v2, s[34:35]
	v_mov_b32_e32 v12, v4
	v_mov_b32_e32 v11, v3
	s_waitcnt vmcnt(1)
	v_and_b32_e32 v1, v9, v11
	s_waitcnt vmcnt(0)
	v_mad_u64_u32 v[3:4], s[52:53], v1, 24, v[13:14]
	v_and_b32_e32 v9, v10, v12
	v_mov_b32_e32 v1, v4
	v_mad_u64_u32 v[9:10], s[52:53], v9, 24, v[1:2]
	v_mov_b32_e32 v4, v9
	global_load_dwordx2 v[9:10], v[3:4], off glc
	s_waitcnt vmcnt(0)
	global_atomic_cmpswap_x2 v[3:4], v2, v[9:12], s[34:35] offset:24 glc
	s_waitcnt vmcnt(0)
	buffer_wbinvl1_vol
	v_cmp_eq_u64_e32 vcc, v[3:4], v[11:12]
	s_or_b64 s[30:31], vcc, s[30:31]
	s_andn2_b64 exec, exec, s[30:31]
	s_cbranch_execnz .LBB5_1109
; %bb.1110:                             ;   in Loop: Header=BB5_280 Depth=1
	s_or_b64 exec, exec, s[30:31]
.LBB5_1111:                             ;   in Loop: Header=BB5_280 Depth=1
	s_or_b64 exec, exec, s[28:29]
.LBB5_1112:                             ;   in Loop: Header=BB5_280 Depth=1
	s_or_b64 exec, exec, s[24:25]
	global_load_dwordx2 v[9:10], v2, s[34:35] offset:40
	global_load_dwordx4 v[11:14], v2, s[34:35]
	v_readfirstlane_b32 s25, v4
	v_readfirstlane_b32 s24, v3
	s_mov_b64 s[28:29], exec
	s_waitcnt vmcnt(1)
	v_readfirstlane_b32 s30, v9
	v_readfirstlane_b32 s31, v10
	s_and_b64 s[30:31], s[30:31], s[24:25]
	s_mul_i32 s52, s31, 24
	s_mul_hi_u32 s53, s30, 24
	s_mul_i32 s54, s30, 24
	s_add_i32 s52, s53, s52
	v_mov_b32_e32 v1, s52
	s_waitcnt vmcnt(0)
	v_add_co_u32_e32 v15, vcc, s54, v11
	v_addc_co_u32_e32 v16, vcc, v12, v1, vcc
	s_and_saveexec_b64 s[52:53], s[4:5]
	s_cbranch_execz .LBB5_1114
; %bb.1113:                             ;   in Loop: Header=BB5_280 Depth=1
	v_mov_b32_e32 v3, s28
	v_mov_b32_e32 v4, s29
	global_store_dwordx4 v[15:16], v[3:6], off offset:8
.LBB5_1114:                             ;   in Loop: Header=BB5_280 Depth=1
	s_or_b64 exec, exec, s[52:53]
	s_lshl_b64 s[28:29], s[30:31], 12
	v_mov_b32_e32 v1, s29
	v_add_co_u32_e32 v13, vcc, s28, v13
	v_addc_co_u32_e32 v14, vcc, v14, v1, vcc
	v_and_or_b32 v7, v7, s33, 32
	v_mov_b32_e32 v9, v2
	v_mov_b32_e32 v10, v2
	v_readfirstlane_b32 s28, v13
	v_readfirstlane_b32 s29, v14
	s_nop 4
	global_store_dwordx4 v44, v[7:10], s[28:29]
	s_nop 0
	v_mov_b32_e32 v7, s8
	v_mov_b32_e32 v8, s9
	;; [unrolled: 1-line block ×4, first 2 shown]
	global_store_dwordx4 v44, v[7:10], s[28:29] offset:16
	global_store_dwordx4 v44, v[7:10], s[28:29] offset:32
	;; [unrolled: 1-line block ×3, first 2 shown]
	s_and_saveexec_b64 s[28:29], s[4:5]
	s_cbranch_execz .LBB5_1122
; %bb.1115:                             ;   in Loop: Header=BB5_280 Depth=1
	global_load_dwordx2 v[19:20], v2, s[34:35] offset:32 glc
	global_load_dwordx2 v[3:4], v2, s[34:35] offset:40
	v_mov_b32_e32 v17, s24
	v_mov_b32_e32 v18, s25
	s_waitcnt vmcnt(0)
	v_readfirstlane_b32 s30, v3
	v_readfirstlane_b32 s31, v4
	s_and_b64 s[30:31], s[30:31], s[24:25]
	s_mul_i32 s31, s31, 24
	s_mul_hi_u32 s52, s30, 24
	s_mul_i32 s30, s30, 24
	s_add_i32 s31, s52, s31
	v_mov_b32_e32 v1, s31
	v_add_co_u32_e32 v3, vcc, s30, v11
	v_addc_co_u32_e32 v4, vcc, v12, v1, vcc
	global_store_dwordx2 v[3:4], v[19:20], off
	s_waitcnt vmcnt(0)
	global_atomic_cmpswap_x2 v[9:10], v2, v[17:20], s[34:35] offset:32 glc
	s_waitcnt vmcnt(0)
	v_cmp_ne_u64_e32 vcc, v[9:10], v[19:20]
	s_and_saveexec_b64 s[30:31], vcc
	s_cbranch_execz .LBB5_1118
; %bb.1116:                             ;   in Loop: Header=BB5_280 Depth=1
	s_mov_b64 s[52:53], 0
.LBB5_1117:                             ;   Parent Loop BB5_280 Depth=1
                                        ; =>  This Inner Loop Header: Depth=2
	s_sleep 1
	global_store_dwordx2 v[3:4], v[9:10], off
	v_mov_b32_e32 v7, s24
	v_mov_b32_e32 v8, s25
	s_waitcnt vmcnt(0)
	global_atomic_cmpswap_x2 v[7:8], v2, v[7:10], s[34:35] offset:32 glc
	s_waitcnt vmcnt(0)
	v_cmp_eq_u64_e32 vcc, v[7:8], v[9:10]
	v_mov_b32_e32 v10, v8
	s_or_b64 s[52:53], vcc, s[52:53]
	v_mov_b32_e32 v9, v7
	s_andn2_b64 exec, exec, s[52:53]
	s_cbranch_execnz .LBB5_1117
.LBB5_1118:                             ;   in Loop: Header=BB5_280 Depth=1
	s_or_b64 exec, exec, s[30:31]
	global_load_dwordx2 v[3:4], v2, s[34:35] offset:16
	s_mov_b64 s[52:53], exec
	v_mbcnt_lo_u32_b32 v1, s52, 0
	v_mbcnt_hi_u32_b32 v1, s53, v1
	v_cmp_eq_u32_e32 vcc, 0, v1
	s_and_saveexec_b64 s[30:31], vcc
	s_cbranch_execz .LBB5_1120
; %bb.1119:                             ;   in Loop: Header=BB5_280 Depth=1
	s_bcnt1_i32_b64 s52, s[52:53]
	v_mov_b32_e32 v1, s52
	s_waitcnt vmcnt(0)
	global_atomic_add_x2 v[3:4], v[1:2], off offset:8
.LBB5_1120:                             ;   in Loop: Header=BB5_280 Depth=1
	s_or_b64 exec, exec, s[30:31]
	s_waitcnt vmcnt(0)
	global_load_dwordx2 v[7:8], v[3:4], off offset:16
	s_waitcnt vmcnt(0)
	v_cmp_eq_u64_e32 vcc, 0, v[7:8]
	s_cbranch_vccnz .LBB5_1122
; %bb.1121:                             ;   in Loop: Header=BB5_280 Depth=1
	global_load_dword v1, v[3:4], off offset:24
	s_waitcnt vmcnt(0)
	v_readfirstlane_b32 s30, v1
	s_and_b32 m0, s30, 0xffffff
	global_store_dwordx2 v[7:8], v[1:2], off
	s_sendmsg sendmsg(MSG_INTERRUPT)
.LBB5_1122:                             ;   in Loop: Header=BB5_280 Depth=1
	s_or_b64 exec, exec, s[28:29]
	v_add_co_u32_e32 v3, vcc, v13, v44
	v_addc_co_u32_e32 v4, vcc, 0, v14, vcc
	s_branch .LBB5_1126
.LBB5_1123:                             ;   in Loop: Header=BB5_1126 Depth=2
	s_or_b64 exec, exec, s[28:29]
	v_readfirstlane_b32 s28, v1
	s_cmp_eq_u32 s28, 0
	s_cbranch_scc1 .LBB5_1125
; %bb.1124:                             ;   in Loop: Header=BB5_1126 Depth=2
	s_sleep 1
	s_cbranch_execnz .LBB5_1126
	s_branch .LBB5_1128
.LBB5_1125:                             ;   in Loop: Header=BB5_280 Depth=1
	s_branch .LBB5_1128
.LBB5_1126:                             ;   Parent Loop BB5_280 Depth=1
                                        ; =>  This Inner Loop Header: Depth=2
	v_mov_b32_e32 v1, 1
	s_and_saveexec_b64 s[28:29], s[4:5]
	s_cbranch_execz .LBB5_1123
; %bb.1127:                             ;   in Loop: Header=BB5_1126 Depth=2
	global_load_dword v1, v[15:16], off offset:20 glc
	s_waitcnt vmcnt(0)
	buffer_wbinvl1_vol
	v_and_b32_e32 v1, 1, v1
	s_branch .LBB5_1123
.LBB5_1128:                             ;   in Loop: Header=BB5_280 Depth=1
	global_load_dwordx2 v[9:10], v[3:4], off
	s_and_saveexec_b64 s[28:29], s[4:5]
	s_cbranch_execz .LBB5_1132
; %bb.1129:                             ;   in Loop: Header=BB5_280 Depth=1
	global_load_dwordx2 v[3:4], v2, s[34:35] offset:40
	global_load_dwordx2 v[15:16], v2, s[34:35] offset:24 glc
	global_load_dwordx2 v[7:8], v2, s[34:35]
	s_waitcnt vmcnt(2)
	v_readfirstlane_b32 s30, v3
	v_readfirstlane_b32 s31, v4
	s_add_u32 s52, s30, 1
	s_addc_u32 s53, s31, 0
	s_add_u32 s4, s52, s24
	s_addc_u32 s5, s53, s25
	s_cmp_eq_u64 s[4:5], 0
	s_cselect_b32 s5, s53, s5
	s_cselect_b32 s4, s52, s4
	s_and_b64 s[24:25], s[4:5], s[30:31]
	s_mul_i32 s25, s25, 24
	s_mul_hi_u32 s30, s24, 24
	s_mul_i32 s24, s24, 24
	s_add_i32 s25, s30, s25
	v_mov_b32_e32 v1, s25
	s_waitcnt vmcnt(0)
	v_add_co_u32_e32 v3, vcc, s24, v7
	v_addc_co_u32_e32 v4, vcc, v8, v1, vcc
	v_mov_b32_e32 v13, s4
	global_store_dwordx2 v[3:4], v[15:16], off
	v_mov_b32_e32 v14, s5
	s_waitcnt vmcnt(0)
	global_atomic_cmpswap_x2 v[13:14], v2, v[13:16], s[34:35] offset:24 glc
	s_waitcnt vmcnt(0)
	v_cmp_ne_u64_e32 vcc, v[13:14], v[15:16]
	s_and_b64 exec, exec, vcc
	s_cbranch_execz .LBB5_1132
; %bb.1130:                             ;   in Loop: Header=BB5_280 Depth=1
	s_mov_b64 s[24:25], 0
.LBB5_1131:                             ;   Parent Loop BB5_280 Depth=1
                                        ; =>  This Inner Loop Header: Depth=2
	s_sleep 1
	global_store_dwordx2 v[3:4], v[13:14], off
	v_mov_b32_e32 v11, s4
	v_mov_b32_e32 v12, s5
	s_waitcnt vmcnt(0)
	global_atomic_cmpswap_x2 v[7:8], v2, v[11:14], s[34:35] offset:24 glc
	s_waitcnt vmcnt(0)
	v_cmp_eq_u64_e32 vcc, v[7:8], v[13:14]
	v_mov_b32_e32 v14, v8
	s_or_b64 s[24:25], vcc, s[24:25]
	v_mov_b32_e32 v13, v7
	s_andn2_b64 exec, exec, s[24:25]
	s_cbranch_execnz .LBB5_1131
.LBB5_1132:                             ;   in Loop: Header=BB5_280 Depth=1
	s_or_b64 exec, exec, s[28:29]
.LBB5_1133:                             ;   in Loop: Header=BB5_280 Depth=1
	v_readfirstlane_b32 s4, v45
	v_mov_b32_e32 v3, 0
	v_mov_b32_e32 v4, 0
	v_cmp_eq_u32_e64 s[4:5], s4, v45
	s_and_saveexec_b64 s[24:25], s[4:5]
	s_cbranch_execz .LBB5_1139
; %bb.1134:                             ;   in Loop: Header=BB5_280 Depth=1
	global_load_dwordx2 v[13:14], v2, s[34:35] offset:24 glc
	s_waitcnt vmcnt(0)
	buffer_wbinvl1_vol
	global_load_dwordx2 v[3:4], v2, s[34:35] offset:40
	global_load_dwordx2 v[7:8], v2, s[34:35]
	s_waitcnt vmcnt(1)
	v_and_b32_e32 v1, v3, v13
	v_and_b32_e32 v3, v4, v14
	v_mul_lo_u32 v3, v3, 24
	v_mul_hi_u32 v4, v1, 24
	v_mul_lo_u32 v1, v1, 24
	v_add_u32_e32 v4, v4, v3
	s_waitcnt vmcnt(0)
	v_add_co_u32_e32 v3, vcc, v7, v1
	v_addc_co_u32_e32 v4, vcc, v8, v4, vcc
	global_load_dwordx2 v[11:12], v[3:4], off glc
	s_waitcnt vmcnt(0)
	global_atomic_cmpswap_x2 v[3:4], v2, v[11:14], s[34:35] offset:24 glc
	s_waitcnt vmcnt(0)
	buffer_wbinvl1_vol
	v_cmp_ne_u64_e32 vcc, v[3:4], v[13:14]
	s_and_saveexec_b64 s[28:29], vcc
	s_cbranch_execz .LBB5_1138
; %bb.1135:                             ;   in Loop: Header=BB5_280 Depth=1
	s_mov_b64 s[30:31], 0
.LBB5_1136:                             ;   Parent Loop BB5_280 Depth=1
                                        ; =>  This Inner Loop Header: Depth=2
	s_sleep 1
	global_load_dwordx2 v[7:8], v2, s[34:35] offset:40
	global_load_dwordx2 v[11:12], v2, s[34:35]
	v_mov_b32_e32 v14, v4
	v_mov_b32_e32 v13, v3
	s_waitcnt vmcnt(1)
	v_and_b32_e32 v1, v7, v13
	s_waitcnt vmcnt(0)
	v_mad_u64_u32 v[3:4], s[52:53], v1, 24, v[11:12]
	v_and_b32_e32 v7, v8, v14
	v_mov_b32_e32 v1, v4
	v_mad_u64_u32 v[7:8], s[52:53], v7, 24, v[1:2]
	v_mov_b32_e32 v4, v7
	global_load_dwordx2 v[11:12], v[3:4], off glc
	s_waitcnt vmcnt(0)
	global_atomic_cmpswap_x2 v[3:4], v2, v[11:14], s[34:35] offset:24 glc
	s_waitcnt vmcnt(0)
	buffer_wbinvl1_vol
	v_cmp_eq_u64_e32 vcc, v[3:4], v[13:14]
	s_or_b64 s[30:31], vcc, s[30:31]
	s_andn2_b64 exec, exec, s[30:31]
	s_cbranch_execnz .LBB5_1136
; %bb.1137:                             ;   in Loop: Header=BB5_280 Depth=1
	s_or_b64 exec, exec, s[30:31]
.LBB5_1138:                             ;   in Loop: Header=BB5_280 Depth=1
	s_or_b64 exec, exec, s[28:29]
.LBB5_1139:                             ;   in Loop: Header=BB5_280 Depth=1
	s_or_b64 exec, exec, s[24:25]
	global_load_dwordx2 v[7:8], v2, s[34:35] offset:40
	global_load_dwordx4 v[13:16], v2, s[34:35]
	v_readfirstlane_b32 s25, v4
	v_readfirstlane_b32 s24, v3
	s_mov_b64 s[28:29], exec
	s_waitcnt vmcnt(1)
	v_readfirstlane_b32 s30, v7
	v_readfirstlane_b32 s31, v8
	s_and_b64 s[30:31], s[30:31], s[24:25]
	s_mul_i32 s52, s31, 24
	s_mul_hi_u32 s53, s30, 24
	s_mul_i32 s54, s30, 24
	s_add_i32 s52, s53, s52
	v_mov_b32_e32 v1, s52
	s_waitcnt vmcnt(0)
	v_add_co_u32_e32 v17, vcc, s54, v13
	v_addc_co_u32_e32 v18, vcc, v14, v1, vcc
	s_and_saveexec_b64 s[52:53], s[4:5]
	s_cbranch_execz .LBB5_1141
; %bb.1140:                             ;   in Loop: Header=BB5_280 Depth=1
	v_mov_b32_e32 v3, s28
	v_mov_b32_e32 v4, s29
	global_store_dwordx4 v[17:18], v[3:6], off offset:8
.LBB5_1141:                             ;   in Loop: Header=BB5_280 Depth=1
	s_or_b64 exec, exec, s[52:53]
	s_lshl_b64 s[28:29], s[30:31], 12
	v_mov_b32_e32 v1, s29
	v_add_co_u32_e32 v3, vcc, s28, v15
	v_addc_co_u32_e32 v1, vcc, v16, v1, vcc
	s_ashr_i32 s28, s61, 1
	v_and_or_b32 v9, v9, s60, 34
	v_mov_b32_e32 v11, s28
	v_mov_b32_e32 v12, v2
	v_readfirstlane_b32 s28, v3
	v_readfirstlane_b32 s29, v1
	s_nop 4
	global_store_dwordx4 v44, v[9:12], s[28:29]
	v_mov_b32_e32 v7, s8
	v_mov_b32_e32 v8, s9
	;; [unrolled: 1-line block ×4, first 2 shown]
	global_store_dwordx4 v44, v[7:10], s[28:29] offset:16
	global_store_dwordx4 v44, v[7:10], s[28:29] offset:32
	;; [unrolled: 1-line block ×3, first 2 shown]
	s_and_saveexec_b64 s[28:29], s[4:5]
	s_cbranch_execz .LBB5_1149
; %bb.1142:                             ;   in Loop: Header=BB5_280 Depth=1
	global_load_dwordx2 v[11:12], v2, s[34:35] offset:32 glc
	global_load_dwordx2 v[3:4], v2, s[34:35] offset:40
	v_mov_b32_e32 v9, s24
	v_mov_b32_e32 v10, s25
	s_waitcnt vmcnt(0)
	v_readfirstlane_b32 s30, v3
	v_readfirstlane_b32 s31, v4
	s_and_b64 s[30:31], s[30:31], s[24:25]
	s_mul_i32 s31, s31, 24
	s_mul_hi_u32 s52, s30, 24
	s_mul_i32 s30, s30, 24
	s_add_i32 s31, s52, s31
	v_mov_b32_e32 v1, s31
	v_add_co_u32_e32 v3, vcc, s30, v13
	v_addc_co_u32_e32 v4, vcc, v14, v1, vcc
	global_store_dwordx2 v[3:4], v[11:12], off
	s_waitcnt vmcnt(0)
	global_atomic_cmpswap_x2 v[9:10], v2, v[9:12], s[34:35] offset:32 glc
	s_waitcnt vmcnt(0)
	v_cmp_ne_u64_e32 vcc, v[9:10], v[11:12]
	s_and_saveexec_b64 s[30:31], vcc
	s_cbranch_execz .LBB5_1145
; %bb.1143:                             ;   in Loop: Header=BB5_280 Depth=1
	s_mov_b64 s[52:53], 0
.LBB5_1144:                             ;   Parent Loop BB5_280 Depth=1
                                        ; =>  This Inner Loop Header: Depth=2
	s_sleep 1
	global_store_dwordx2 v[3:4], v[9:10], off
	v_mov_b32_e32 v7, s24
	v_mov_b32_e32 v8, s25
	s_waitcnt vmcnt(0)
	global_atomic_cmpswap_x2 v[7:8], v2, v[7:10], s[34:35] offset:32 glc
	s_waitcnt vmcnt(0)
	v_cmp_eq_u64_e32 vcc, v[7:8], v[9:10]
	v_mov_b32_e32 v10, v8
	s_or_b64 s[52:53], vcc, s[52:53]
	v_mov_b32_e32 v9, v7
	s_andn2_b64 exec, exec, s[52:53]
	s_cbranch_execnz .LBB5_1144
.LBB5_1145:                             ;   in Loop: Header=BB5_280 Depth=1
	s_or_b64 exec, exec, s[30:31]
	global_load_dwordx2 v[3:4], v2, s[34:35] offset:16
	s_mov_b64 s[52:53], exec
	v_mbcnt_lo_u32_b32 v1, s52, 0
	v_mbcnt_hi_u32_b32 v1, s53, v1
	v_cmp_eq_u32_e32 vcc, 0, v1
	s_and_saveexec_b64 s[30:31], vcc
	s_cbranch_execz .LBB5_1147
; %bb.1146:                             ;   in Loop: Header=BB5_280 Depth=1
	s_bcnt1_i32_b64 s52, s[52:53]
	v_mov_b32_e32 v1, s52
	s_waitcnt vmcnt(0)
	global_atomic_add_x2 v[3:4], v[1:2], off offset:8
.LBB5_1147:                             ;   in Loop: Header=BB5_280 Depth=1
	s_or_b64 exec, exec, s[30:31]
	s_waitcnt vmcnt(0)
	global_load_dwordx2 v[7:8], v[3:4], off offset:16
	s_waitcnt vmcnt(0)
	v_cmp_eq_u64_e32 vcc, 0, v[7:8]
	s_cbranch_vccnz .LBB5_1149
; %bb.1148:                             ;   in Loop: Header=BB5_280 Depth=1
	global_load_dword v1, v[3:4], off offset:24
	s_waitcnt vmcnt(0)
	v_readfirstlane_b32 s30, v1
	s_and_b32 m0, s30, 0xffffff
	global_store_dwordx2 v[7:8], v[1:2], off
	s_sendmsg sendmsg(MSG_INTERRUPT)
.LBB5_1149:                             ;   in Loop: Header=BB5_280 Depth=1
	s_or_b64 exec, exec, s[28:29]
	s_branch .LBB5_1153
.LBB5_1150:                             ;   in Loop: Header=BB5_1153 Depth=2
	s_or_b64 exec, exec, s[28:29]
	v_readfirstlane_b32 s28, v1
	s_cmp_eq_u32 s28, 0
	s_cbranch_scc1 .LBB5_1152
; %bb.1151:                             ;   in Loop: Header=BB5_1153 Depth=2
	s_sleep 1
	s_cbranch_execnz .LBB5_1153
	s_branch .LBB5_1155
.LBB5_1152:                             ;   in Loop: Header=BB5_280 Depth=1
	s_branch .LBB5_1155
.LBB5_1153:                             ;   Parent Loop BB5_280 Depth=1
                                        ; =>  This Inner Loop Header: Depth=2
	v_mov_b32_e32 v1, 1
	s_and_saveexec_b64 s[28:29], s[4:5]
	s_cbranch_execz .LBB5_1150
; %bb.1154:                             ;   in Loop: Header=BB5_1153 Depth=2
	global_load_dword v1, v[17:18], off offset:20 glc
	s_waitcnt vmcnt(0)
	buffer_wbinvl1_vol
	v_and_b32_e32 v1, 1, v1
	s_branch .LBB5_1150
.LBB5_1155:                             ;   in Loop: Header=BB5_280 Depth=1
	s_and_saveexec_b64 s[28:29], s[4:5]
	s_cbranch_execz .LBB5_1159
; %bb.1156:                             ;   in Loop: Header=BB5_280 Depth=1
	global_load_dwordx2 v[3:4], v2, s[34:35] offset:40
	global_load_dwordx2 v[11:12], v2, s[34:35] offset:24 glc
	global_load_dwordx2 v[7:8], v2, s[34:35]
	s_waitcnt vmcnt(2)
	v_readfirstlane_b32 s30, v3
	v_readfirstlane_b32 s31, v4
	s_add_u32 s52, s30, 1
	s_addc_u32 s53, s31, 0
	s_add_u32 s4, s52, s24
	s_addc_u32 s5, s53, s25
	s_cmp_eq_u64 s[4:5], 0
	s_cselect_b32 s5, s53, s5
	s_cselect_b32 s4, s52, s4
	s_and_b64 s[24:25], s[4:5], s[30:31]
	s_mul_i32 s25, s25, 24
	s_mul_hi_u32 s30, s24, 24
	s_mul_i32 s24, s24, 24
	s_add_i32 s25, s30, s25
	v_mov_b32_e32 v1, s25
	s_waitcnt vmcnt(0)
	v_add_co_u32_e32 v3, vcc, s24, v7
	v_addc_co_u32_e32 v4, vcc, v8, v1, vcc
	v_mov_b32_e32 v9, s4
	global_store_dwordx2 v[3:4], v[11:12], off
	v_mov_b32_e32 v10, s5
	s_waitcnt vmcnt(0)
	global_atomic_cmpswap_x2 v[9:10], v2, v[9:12], s[34:35] offset:24 glc
	s_waitcnt vmcnt(0)
	v_cmp_ne_u64_e32 vcc, v[9:10], v[11:12]
	s_and_b64 exec, exec, vcc
	s_cbranch_execz .LBB5_1159
; %bb.1157:                             ;   in Loop: Header=BB5_280 Depth=1
	s_mov_b64 s[24:25], 0
.LBB5_1158:                             ;   Parent Loop BB5_280 Depth=1
                                        ; =>  This Inner Loop Header: Depth=2
	s_sleep 1
	global_store_dwordx2 v[3:4], v[9:10], off
	v_mov_b32_e32 v7, s4
	v_mov_b32_e32 v8, s5
	s_waitcnt vmcnt(0)
	global_atomic_cmpswap_x2 v[7:8], v2, v[7:10], s[34:35] offset:24 glc
	s_waitcnt vmcnt(0)
	v_cmp_eq_u64_e32 vcc, v[7:8], v[9:10]
	v_mov_b32_e32 v10, v8
	s_or_b64 s[24:25], vcc, s[24:25]
	v_mov_b32_e32 v9, v7
	s_andn2_b64 exec, exec, s[24:25]
	s_cbranch_execnz .LBB5_1158
.LBB5_1159:                             ;   in Loop: Header=BB5_280 Depth=1
	s_or_b64 exec, exec, s[28:29]
	s_branch .LBB5_1300
.LBB5_1160:                             ;   in Loop: Header=BB5_280 Depth=1
	v_readfirstlane_b32 s4, v45
	v_mov_b32_e32 v3, 0
	v_mov_b32_e32 v4, 0
	v_cmp_eq_u32_e64 s[4:5], s4, v45
	s_and_saveexec_b64 s[24:25], s[4:5]
	s_cbranch_execz .LBB5_1166
; %bb.1161:                             ;   in Loop: Header=BB5_280 Depth=1
	global_load_dwordx2 v[9:10], v2, s[34:35] offset:24 glc
	s_waitcnt vmcnt(0)
	buffer_wbinvl1_vol
	global_load_dwordx2 v[3:4], v2, s[34:35] offset:40
	global_load_dwordx2 v[7:8], v2, s[34:35]
	s_waitcnt vmcnt(1)
	v_and_b32_e32 v1, v3, v9
	v_and_b32_e32 v3, v4, v10
	v_mul_lo_u32 v3, v3, 24
	v_mul_hi_u32 v4, v1, 24
	v_mul_lo_u32 v1, v1, 24
	v_add_u32_e32 v4, v4, v3
	s_waitcnt vmcnt(0)
	v_add_co_u32_e32 v3, vcc, v7, v1
	v_addc_co_u32_e32 v4, vcc, v8, v4, vcc
	global_load_dwordx2 v[7:8], v[3:4], off glc
	s_waitcnt vmcnt(0)
	global_atomic_cmpswap_x2 v[3:4], v2, v[7:10], s[34:35] offset:24 glc
	s_waitcnt vmcnt(0)
	buffer_wbinvl1_vol
	v_cmp_ne_u64_e32 vcc, v[3:4], v[9:10]
	s_and_saveexec_b64 s[28:29], vcc
	s_cbranch_execz .LBB5_1165
; %bb.1162:                             ;   in Loop: Header=BB5_280 Depth=1
	s_mov_b64 s[30:31], 0
.LBB5_1163:                             ;   Parent Loop BB5_280 Depth=1
                                        ; =>  This Inner Loop Header: Depth=2
	s_sleep 1
	global_load_dwordx2 v[7:8], v2, s[34:35] offset:40
	global_load_dwordx2 v[11:12], v2, s[34:35]
	v_mov_b32_e32 v10, v4
	v_mov_b32_e32 v9, v3
	s_waitcnt vmcnt(1)
	v_and_b32_e32 v1, v7, v9
	s_waitcnt vmcnt(0)
	v_mad_u64_u32 v[3:4], s[52:53], v1, 24, v[11:12]
	v_and_b32_e32 v7, v8, v10
	v_mov_b32_e32 v1, v4
	v_mad_u64_u32 v[7:8], s[52:53], v7, 24, v[1:2]
	v_mov_b32_e32 v4, v7
	global_load_dwordx2 v[7:8], v[3:4], off glc
	s_waitcnt vmcnt(0)
	global_atomic_cmpswap_x2 v[3:4], v2, v[7:10], s[34:35] offset:24 glc
	s_waitcnt vmcnt(0)
	buffer_wbinvl1_vol
	v_cmp_eq_u64_e32 vcc, v[3:4], v[9:10]
	s_or_b64 s[30:31], vcc, s[30:31]
	s_andn2_b64 exec, exec, s[30:31]
	s_cbranch_execnz .LBB5_1163
; %bb.1164:                             ;   in Loop: Header=BB5_280 Depth=1
	s_or_b64 exec, exec, s[30:31]
.LBB5_1165:                             ;   in Loop: Header=BB5_280 Depth=1
	s_or_b64 exec, exec, s[28:29]
.LBB5_1166:                             ;   in Loop: Header=BB5_280 Depth=1
	s_or_b64 exec, exec, s[24:25]
	global_load_dwordx2 v[11:12], v2, s[34:35] offset:40
	global_load_dwordx4 v[7:10], v2, s[34:35]
	v_readfirstlane_b32 s25, v4
	v_readfirstlane_b32 s24, v3
	s_mov_b64 s[28:29], exec
	s_waitcnt vmcnt(1)
	v_readfirstlane_b32 s30, v11
	v_readfirstlane_b32 s31, v12
	s_and_b64 s[30:31], s[30:31], s[24:25]
	s_mul_i32 s52, s31, 24
	s_mul_hi_u32 s53, s30, 24
	s_mul_i32 s54, s30, 24
	s_add_i32 s52, s53, s52
	v_mov_b32_e32 v1, s52
	s_waitcnt vmcnt(0)
	v_add_co_u32_e32 v11, vcc, s54, v7
	v_addc_co_u32_e32 v12, vcc, v8, v1, vcc
	s_and_saveexec_b64 s[52:53], s[4:5]
	s_cbranch_execz .LBB5_1168
; %bb.1167:                             ;   in Loop: Header=BB5_280 Depth=1
	v_mov_b32_e32 v3, s28
	v_mov_b32_e32 v4, s29
	global_store_dwordx4 v[11:12], v[3:6], off offset:8
.LBB5_1168:                             ;   in Loop: Header=BB5_280 Depth=1
	s_or_b64 exec, exec, s[52:53]
	s_lshl_b64 s[28:29], s[30:31], 12
	v_mov_b32_e32 v1, s29
	v_add_co_u32_e32 v13, vcc, s28, v9
	v_addc_co_u32_e32 v14, vcc, v10, v1, vcc
	v_mov_b32_e32 v18, s11
	v_mov_b32_e32 v1, v2
	;; [unrolled: 1-line block ×3, first 2 shown]
	v_readfirstlane_b32 s28, v13
	v_readfirstlane_b32 s29, v14
	v_mov_b32_e32 v17, s10
	v_mov_b32_e32 v16, s9
	;; [unrolled: 1-line block ×3, first 2 shown]
	s_nop 1
	global_store_dwordx4 v44, v[0:3], s[28:29]
	global_store_dwordx4 v44, v[15:18], s[28:29] offset:16
	global_store_dwordx4 v44, v[15:18], s[28:29] offset:32
	;; [unrolled: 1-line block ×3, first 2 shown]
	s_and_saveexec_b64 s[28:29], s[4:5]
	s_cbranch_execz .LBB5_1176
; %bb.1169:                             ;   in Loop: Header=BB5_280 Depth=1
	global_load_dwordx2 v[17:18], v2, s[34:35] offset:32 glc
	global_load_dwordx2 v[3:4], v2, s[34:35] offset:40
	v_mov_b32_e32 v15, s24
	v_mov_b32_e32 v16, s25
	s_waitcnt vmcnt(0)
	v_readfirstlane_b32 s30, v3
	v_readfirstlane_b32 s31, v4
	s_and_b64 s[30:31], s[30:31], s[24:25]
	s_mul_i32 s31, s31, 24
	s_mul_hi_u32 s52, s30, 24
	s_mul_i32 s30, s30, 24
	s_add_i32 s31, s52, s31
	v_mov_b32_e32 v1, s31
	v_add_co_u32_e32 v3, vcc, s30, v7
	v_addc_co_u32_e32 v4, vcc, v8, v1, vcc
	global_store_dwordx2 v[3:4], v[17:18], off
	s_waitcnt vmcnt(0)
	global_atomic_cmpswap_x2 v[9:10], v2, v[15:18], s[34:35] offset:32 glc
	s_waitcnt vmcnt(0)
	v_cmp_ne_u64_e32 vcc, v[9:10], v[17:18]
	s_and_saveexec_b64 s[30:31], vcc
	s_cbranch_execz .LBB5_1172
; %bb.1170:                             ;   in Loop: Header=BB5_280 Depth=1
	s_mov_b64 s[52:53], 0
.LBB5_1171:                             ;   Parent Loop BB5_280 Depth=1
                                        ; =>  This Inner Loop Header: Depth=2
	s_sleep 1
	global_store_dwordx2 v[3:4], v[9:10], off
	v_mov_b32_e32 v7, s24
	v_mov_b32_e32 v8, s25
	s_waitcnt vmcnt(0)
	global_atomic_cmpswap_x2 v[7:8], v2, v[7:10], s[34:35] offset:32 glc
	s_waitcnt vmcnt(0)
	v_cmp_eq_u64_e32 vcc, v[7:8], v[9:10]
	v_mov_b32_e32 v10, v8
	s_or_b64 s[52:53], vcc, s[52:53]
	v_mov_b32_e32 v9, v7
	s_andn2_b64 exec, exec, s[52:53]
	s_cbranch_execnz .LBB5_1171
.LBB5_1172:                             ;   in Loop: Header=BB5_280 Depth=1
	s_or_b64 exec, exec, s[30:31]
	global_load_dwordx2 v[3:4], v2, s[34:35] offset:16
	s_mov_b64 s[52:53], exec
	v_mbcnt_lo_u32_b32 v1, s52, 0
	v_mbcnt_hi_u32_b32 v1, s53, v1
	v_cmp_eq_u32_e32 vcc, 0, v1
	s_and_saveexec_b64 s[30:31], vcc
	s_cbranch_execz .LBB5_1174
; %bb.1173:                             ;   in Loop: Header=BB5_280 Depth=1
	s_bcnt1_i32_b64 s52, s[52:53]
	v_mov_b32_e32 v1, s52
	s_waitcnt vmcnt(0)
	global_atomic_add_x2 v[3:4], v[1:2], off offset:8
.LBB5_1174:                             ;   in Loop: Header=BB5_280 Depth=1
	s_or_b64 exec, exec, s[30:31]
	s_waitcnt vmcnt(0)
	global_load_dwordx2 v[7:8], v[3:4], off offset:16
	s_waitcnt vmcnt(0)
	v_cmp_eq_u64_e32 vcc, 0, v[7:8]
	s_cbranch_vccnz .LBB5_1176
; %bb.1175:                             ;   in Loop: Header=BB5_280 Depth=1
	global_load_dword v1, v[3:4], off offset:24
	s_waitcnt vmcnt(0)
	v_readfirstlane_b32 s30, v1
	s_and_b32 m0, s30, 0xffffff
	global_store_dwordx2 v[7:8], v[1:2], off
	s_sendmsg sendmsg(MSG_INTERRUPT)
.LBB5_1176:                             ;   in Loop: Header=BB5_280 Depth=1
	s_or_b64 exec, exec, s[28:29]
	v_add_co_u32_e32 v3, vcc, v13, v44
	v_addc_co_u32_e32 v4, vcc, 0, v14, vcc
	s_branch .LBB5_1180
.LBB5_1177:                             ;   in Loop: Header=BB5_1180 Depth=2
	s_or_b64 exec, exec, s[28:29]
	v_readfirstlane_b32 s28, v1
	s_cmp_eq_u32 s28, 0
	s_cbranch_scc1 .LBB5_1179
; %bb.1178:                             ;   in Loop: Header=BB5_1180 Depth=2
	s_sleep 1
	s_cbranch_execnz .LBB5_1180
	s_branch .LBB5_1182
.LBB5_1179:                             ;   in Loop: Header=BB5_280 Depth=1
	s_branch .LBB5_1182
.LBB5_1180:                             ;   Parent Loop BB5_280 Depth=1
                                        ; =>  This Inner Loop Header: Depth=2
	v_mov_b32_e32 v1, 1
	s_and_saveexec_b64 s[28:29], s[4:5]
	s_cbranch_execz .LBB5_1177
; %bb.1181:                             ;   in Loop: Header=BB5_1180 Depth=2
	global_load_dword v1, v[11:12], off offset:20 glc
	s_waitcnt vmcnt(0)
	buffer_wbinvl1_vol
	v_and_b32_e32 v1, 1, v1
	s_branch .LBB5_1177
.LBB5_1182:                             ;   in Loop: Header=BB5_280 Depth=1
	global_load_dwordx2 v[7:8], v[3:4], off
	s_and_saveexec_b64 s[28:29], s[4:5]
	s_cbranch_execz .LBB5_1186
; %bb.1183:                             ;   in Loop: Header=BB5_280 Depth=1
	global_load_dwordx2 v[3:4], v2, s[34:35] offset:40
	global_load_dwordx2 v[13:14], v2, s[34:35] offset:24 glc
	global_load_dwordx2 v[9:10], v2, s[34:35]
	s_waitcnt vmcnt(2)
	v_readfirstlane_b32 s30, v3
	v_readfirstlane_b32 s31, v4
	s_add_u32 s52, s30, 1
	s_addc_u32 s53, s31, 0
	s_add_u32 s4, s52, s24
	s_addc_u32 s5, s53, s25
	s_cmp_eq_u64 s[4:5], 0
	s_cselect_b32 s5, s53, s5
	s_cselect_b32 s4, s52, s4
	s_and_b64 s[24:25], s[4:5], s[30:31]
	s_mul_i32 s25, s25, 24
	s_mul_hi_u32 s30, s24, 24
	s_mul_i32 s24, s24, 24
	s_add_i32 s25, s30, s25
	v_mov_b32_e32 v1, s25
	s_waitcnt vmcnt(0)
	v_add_co_u32_e32 v3, vcc, s24, v9
	v_addc_co_u32_e32 v4, vcc, v10, v1, vcc
	v_mov_b32_e32 v11, s4
	global_store_dwordx2 v[3:4], v[13:14], off
	v_mov_b32_e32 v12, s5
	s_waitcnt vmcnt(0)
	global_atomic_cmpswap_x2 v[11:12], v2, v[11:14], s[34:35] offset:24 glc
	s_waitcnt vmcnt(0)
	v_cmp_ne_u64_e32 vcc, v[11:12], v[13:14]
	s_and_b64 exec, exec, vcc
	s_cbranch_execz .LBB5_1186
; %bb.1184:                             ;   in Loop: Header=BB5_280 Depth=1
	s_mov_b64 s[24:25], 0
.LBB5_1185:                             ;   Parent Loop BB5_280 Depth=1
                                        ; =>  This Inner Loop Header: Depth=2
	s_sleep 1
	global_store_dwordx2 v[3:4], v[11:12], off
	v_mov_b32_e32 v9, s4
	v_mov_b32_e32 v10, s5
	s_waitcnt vmcnt(0)
	global_atomic_cmpswap_x2 v[9:10], v2, v[9:12], s[34:35] offset:24 glc
	s_waitcnt vmcnt(0)
	v_cmp_eq_u64_e32 vcc, v[9:10], v[11:12]
	v_mov_b32_e32 v12, v10
	s_or_b64 s[24:25], vcc, s[24:25]
	v_mov_b32_e32 v11, v9
	s_andn2_b64 exec, exec, s[24:25]
	s_cbranch_execnz .LBB5_1185
.LBB5_1186:                             ;   in Loop: Header=BB5_280 Depth=1
	s_or_b64 exec, exec, s[28:29]
	s_and_b64 vcc, exec, s[14:15]
	s_cbranch_vccz .LBB5_1272
; %bb.1187:                             ;   in Loop: Header=BB5_280 Depth=1
	s_waitcnt vmcnt(0)
	v_and_b32_e32 v9, -3, v7
	v_mov_b32_e32 v10, v8
	s_mov_b64 s[28:29], 2
	s_getpc_b64 s[24:25]
	s_add_u32 s24, s24, .str.6@rel32@lo+4
	s_addc_u32 s25, s25, .str.6@rel32@hi+12
	s_branch .LBB5_1189
.LBB5_1188:                             ;   in Loop: Header=BB5_1189 Depth=2
	s_or_b64 exec, exec, s[54:55]
	s_sub_u32 s28, s28, s30
	s_subb_u32 s29, s29, s31
	s_add_u32 s24, s24, s30
	s_addc_u32 s25, s25, s31
	s_cmp_eq_u64 s[28:29], 0
	s_cbranch_scc1 .LBB5_1271
.LBB5_1189:                             ;   Parent Loop BB5_280 Depth=1
                                        ; =>  This Loop Header: Depth=2
                                        ;       Child Loop BB5_1192 Depth 3
                                        ;       Child Loop BB5_1200 Depth 3
	;; [unrolled: 1-line block ×11, first 2 shown]
	v_cmp_lt_u64_e64 s[4:5], s[28:29], 56
	v_cmp_gt_u64_e64 s[52:53], s[28:29], 7
	s_and_b64 s[4:5], s[4:5], exec
	s_cselect_b32 s31, s29, 0
	s_cselect_b32 s30, s28, 56
	s_add_u32 s4, s24, 8
	s_addc_u32 s5, s25, 0
	s_and_b64 vcc, exec, s[52:53]
	s_cbranch_vccnz .LBB5_1193
; %bb.1190:                             ;   in Loop: Header=BB5_1189 Depth=2
	s_cmp_eq_u64 s[28:29], 0
	s_cbranch_scc1 .LBB5_1194
; %bb.1191:                             ;   in Loop: Header=BB5_1189 Depth=2
	s_waitcnt vmcnt(0)
	v_mov_b32_e32 v11, 0
	s_lshl_b64 s[4:5], s[30:31], 3
	s_mov_b64 s[52:53], 0
	v_mov_b32_e32 v12, 0
	s_mov_b64 s[54:55], s[24:25]
.LBB5_1192:                             ;   Parent Loop BB5_280 Depth=1
                                        ;     Parent Loop BB5_1189 Depth=2
                                        ; =>    This Inner Loop Header: Depth=3
	global_load_ubyte v1, v2, s[54:55]
	s_waitcnt vmcnt(0)
	v_and_b32_e32 v1, 0xffff, v1
	v_lshlrev_b64 v[3:4], s52, v[1:2]
	s_add_u32 s52, s52, 8
	s_addc_u32 s53, s53, 0
	s_add_u32 s54, s54, 1
	s_addc_u32 s55, s55, 0
	v_or_b32_e32 v11, v3, v11
	s_cmp_lg_u32 s4, s52
	v_or_b32_e32 v12, v4, v12
	s_cbranch_scc1 .LBB5_1192
	s_branch .LBB5_1195
.LBB5_1193:                             ;   in Loop: Header=BB5_1189 Depth=2
	s_mov_b32 s56, 0
	s_branch .LBB5_1196
.LBB5_1194:                             ;   in Loop: Header=BB5_1189 Depth=2
	s_waitcnt vmcnt(0)
	v_mov_b32_e32 v11, 0
	v_mov_b32_e32 v12, 0
.LBB5_1195:                             ;   in Loop: Header=BB5_1189 Depth=2
	s_mov_b64 s[4:5], s[24:25]
	s_mov_b32 s56, 0
	s_cbranch_execnz .LBB5_1197
.LBB5_1196:                             ;   in Loop: Header=BB5_1189 Depth=2
	global_load_dwordx2 v[11:12], v2, s[24:25]
	s_add_i32 s56, s30, -8
.LBB5_1197:                             ;   in Loop: Header=BB5_1189 Depth=2
	s_add_u32 s52, s4, 8
	s_addc_u32 s53, s5, 0
	s_cmp_gt_u32 s56, 7
	s_cbranch_scc1 .LBB5_1201
; %bb.1198:                             ;   in Loop: Header=BB5_1189 Depth=2
	s_cmp_eq_u32 s56, 0
	s_cbranch_scc1 .LBB5_1202
; %bb.1199:                             ;   in Loop: Header=BB5_1189 Depth=2
	v_mov_b32_e32 v13, 0
	s_mov_b64 s[52:53], 0
	v_mov_b32_e32 v14, 0
	s_mov_b64 s[54:55], 0
.LBB5_1200:                             ;   Parent Loop BB5_280 Depth=1
                                        ;     Parent Loop BB5_1189 Depth=2
                                        ; =>    This Inner Loop Header: Depth=3
	s_add_u32 s58, s4, s54
	s_addc_u32 s59, s5, s55
	global_load_ubyte v1, v2, s[58:59]
	s_add_u32 s54, s54, 1
	s_addc_u32 s55, s55, 0
	s_waitcnt vmcnt(0)
	v_and_b32_e32 v1, 0xffff, v1
	v_lshlrev_b64 v[3:4], s52, v[1:2]
	s_add_u32 s52, s52, 8
	s_addc_u32 s53, s53, 0
	v_or_b32_e32 v13, v3, v13
	s_cmp_lg_u32 s56, s54
	v_or_b32_e32 v14, v4, v14
	s_cbranch_scc1 .LBB5_1200
	s_branch .LBB5_1203
.LBB5_1201:                             ;   in Loop: Header=BB5_1189 Depth=2
                                        ; implicit-def: $vgpr13_vgpr14
	s_mov_b32 s57, 0
	s_branch .LBB5_1204
.LBB5_1202:                             ;   in Loop: Header=BB5_1189 Depth=2
	v_mov_b32_e32 v13, 0
	v_mov_b32_e32 v14, 0
.LBB5_1203:                             ;   in Loop: Header=BB5_1189 Depth=2
	s_mov_b64 s[52:53], s[4:5]
	s_mov_b32 s57, 0
	s_cbranch_execnz .LBB5_1205
.LBB5_1204:                             ;   in Loop: Header=BB5_1189 Depth=2
	global_load_dwordx2 v[13:14], v2, s[4:5]
	s_add_i32 s57, s56, -8
.LBB5_1205:                             ;   in Loop: Header=BB5_1189 Depth=2
	s_add_u32 s4, s52, 8
	s_addc_u32 s5, s53, 0
	s_cmp_gt_u32 s57, 7
	s_cbranch_scc1 .LBB5_1209
; %bb.1206:                             ;   in Loop: Header=BB5_1189 Depth=2
	s_cmp_eq_u32 s57, 0
	s_cbranch_scc1 .LBB5_1210
; %bb.1207:                             ;   in Loop: Header=BB5_1189 Depth=2
	v_mov_b32_e32 v15, 0
	s_mov_b64 s[4:5], 0
	v_mov_b32_e32 v16, 0
	s_mov_b64 s[54:55], 0
.LBB5_1208:                             ;   Parent Loop BB5_280 Depth=1
                                        ;     Parent Loop BB5_1189 Depth=2
                                        ; =>    This Inner Loop Header: Depth=3
	s_add_u32 s58, s52, s54
	s_addc_u32 s59, s53, s55
	global_load_ubyte v1, v2, s[58:59]
	s_add_u32 s54, s54, 1
	s_addc_u32 s55, s55, 0
	s_waitcnt vmcnt(0)
	v_and_b32_e32 v1, 0xffff, v1
	v_lshlrev_b64 v[3:4], s4, v[1:2]
	s_add_u32 s4, s4, 8
	s_addc_u32 s5, s5, 0
	v_or_b32_e32 v15, v3, v15
	s_cmp_lg_u32 s57, s54
	v_or_b32_e32 v16, v4, v16
	s_cbranch_scc1 .LBB5_1208
	s_branch .LBB5_1211
.LBB5_1209:                             ;   in Loop: Header=BB5_1189 Depth=2
	s_mov_b32 s56, 0
	s_branch .LBB5_1212
.LBB5_1210:                             ;   in Loop: Header=BB5_1189 Depth=2
	v_mov_b32_e32 v15, 0
	v_mov_b32_e32 v16, 0
.LBB5_1211:                             ;   in Loop: Header=BB5_1189 Depth=2
	s_mov_b64 s[4:5], s[52:53]
	s_mov_b32 s56, 0
	s_cbranch_execnz .LBB5_1213
.LBB5_1212:                             ;   in Loop: Header=BB5_1189 Depth=2
	global_load_dwordx2 v[15:16], v2, s[52:53]
	s_add_i32 s56, s57, -8
.LBB5_1213:                             ;   in Loop: Header=BB5_1189 Depth=2
	s_add_u32 s52, s4, 8
	s_addc_u32 s53, s5, 0
	s_cmp_gt_u32 s56, 7
	s_cbranch_scc1 .LBB5_1217
; %bb.1214:                             ;   in Loop: Header=BB5_1189 Depth=2
	s_cmp_eq_u32 s56, 0
	s_cbranch_scc1 .LBB5_1218
; %bb.1215:                             ;   in Loop: Header=BB5_1189 Depth=2
	v_mov_b32_e32 v17, 0
	s_mov_b64 s[52:53], 0
	v_mov_b32_e32 v18, 0
	s_mov_b64 s[54:55], 0
.LBB5_1216:                             ;   Parent Loop BB5_280 Depth=1
                                        ;     Parent Loop BB5_1189 Depth=2
                                        ; =>    This Inner Loop Header: Depth=3
	s_add_u32 s58, s4, s54
	s_addc_u32 s59, s5, s55
	global_load_ubyte v1, v2, s[58:59]
	s_add_u32 s54, s54, 1
	s_addc_u32 s55, s55, 0
	s_waitcnt vmcnt(0)
	v_and_b32_e32 v1, 0xffff, v1
	v_lshlrev_b64 v[3:4], s52, v[1:2]
	s_add_u32 s52, s52, 8
	s_addc_u32 s53, s53, 0
	v_or_b32_e32 v17, v3, v17
	s_cmp_lg_u32 s56, s54
	v_or_b32_e32 v18, v4, v18
	s_cbranch_scc1 .LBB5_1216
	s_branch .LBB5_1219
.LBB5_1217:                             ;   in Loop: Header=BB5_1189 Depth=2
                                        ; implicit-def: $vgpr17_vgpr18
	s_mov_b32 s57, 0
	s_branch .LBB5_1220
.LBB5_1218:                             ;   in Loop: Header=BB5_1189 Depth=2
	v_mov_b32_e32 v17, 0
	v_mov_b32_e32 v18, 0
.LBB5_1219:                             ;   in Loop: Header=BB5_1189 Depth=2
	s_mov_b64 s[52:53], s[4:5]
	s_mov_b32 s57, 0
	s_cbranch_execnz .LBB5_1221
.LBB5_1220:                             ;   in Loop: Header=BB5_1189 Depth=2
	global_load_dwordx2 v[17:18], v2, s[4:5]
	s_add_i32 s57, s56, -8
.LBB5_1221:                             ;   in Loop: Header=BB5_1189 Depth=2
	s_add_u32 s4, s52, 8
	s_addc_u32 s5, s53, 0
	s_cmp_gt_u32 s57, 7
	s_cbranch_scc1 .LBB5_1225
; %bb.1222:                             ;   in Loop: Header=BB5_1189 Depth=2
	s_cmp_eq_u32 s57, 0
	s_cbranch_scc1 .LBB5_1226
; %bb.1223:                             ;   in Loop: Header=BB5_1189 Depth=2
	v_mov_b32_e32 v19, 0
	s_mov_b64 s[4:5], 0
	v_mov_b32_e32 v20, 0
	s_mov_b64 s[54:55], 0
.LBB5_1224:                             ;   Parent Loop BB5_280 Depth=1
                                        ;     Parent Loop BB5_1189 Depth=2
                                        ; =>    This Inner Loop Header: Depth=3
	s_add_u32 s58, s52, s54
	s_addc_u32 s59, s53, s55
	global_load_ubyte v1, v2, s[58:59]
	s_add_u32 s54, s54, 1
	s_addc_u32 s55, s55, 0
	s_waitcnt vmcnt(0)
	v_and_b32_e32 v1, 0xffff, v1
	v_lshlrev_b64 v[3:4], s4, v[1:2]
	s_add_u32 s4, s4, 8
	s_addc_u32 s5, s5, 0
	v_or_b32_e32 v19, v3, v19
	s_cmp_lg_u32 s57, s54
	v_or_b32_e32 v20, v4, v20
	s_cbranch_scc1 .LBB5_1224
	s_branch .LBB5_1227
.LBB5_1225:                             ;   in Loop: Header=BB5_1189 Depth=2
	s_mov_b32 s56, 0
	s_branch .LBB5_1228
.LBB5_1226:                             ;   in Loop: Header=BB5_1189 Depth=2
	v_mov_b32_e32 v19, 0
	v_mov_b32_e32 v20, 0
.LBB5_1227:                             ;   in Loop: Header=BB5_1189 Depth=2
	s_mov_b64 s[4:5], s[52:53]
	s_mov_b32 s56, 0
	s_cbranch_execnz .LBB5_1229
.LBB5_1228:                             ;   in Loop: Header=BB5_1189 Depth=2
	global_load_dwordx2 v[19:20], v2, s[52:53]
	s_add_i32 s56, s57, -8
.LBB5_1229:                             ;   in Loop: Header=BB5_1189 Depth=2
	s_add_u32 s52, s4, 8
	s_addc_u32 s53, s5, 0
	s_cmp_gt_u32 s56, 7
	s_cbranch_scc1 .LBB5_1233
; %bb.1230:                             ;   in Loop: Header=BB5_1189 Depth=2
	s_cmp_eq_u32 s56, 0
	s_cbranch_scc1 .LBB5_1234
; %bb.1231:                             ;   in Loop: Header=BB5_1189 Depth=2
	v_mov_b32_e32 v21, 0
	s_mov_b64 s[52:53], 0
	v_mov_b32_e32 v22, 0
	s_mov_b64 s[54:55], 0
.LBB5_1232:                             ;   Parent Loop BB5_280 Depth=1
                                        ;     Parent Loop BB5_1189 Depth=2
                                        ; =>    This Inner Loop Header: Depth=3
	s_add_u32 s58, s4, s54
	s_addc_u32 s59, s5, s55
	global_load_ubyte v1, v2, s[58:59]
	s_add_u32 s54, s54, 1
	s_addc_u32 s55, s55, 0
	s_waitcnt vmcnt(0)
	v_and_b32_e32 v1, 0xffff, v1
	v_lshlrev_b64 v[3:4], s52, v[1:2]
	s_add_u32 s52, s52, 8
	s_addc_u32 s53, s53, 0
	v_or_b32_e32 v21, v3, v21
	s_cmp_lg_u32 s56, s54
	v_or_b32_e32 v22, v4, v22
	s_cbranch_scc1 .LBB5_1232
	s_branch .LBB5_1235
.LBB5_1233:                             ;   in Loop: Header=BB5_1189 Depth=2
                                        ; implicit-def: $vgpr21_vgpr22
	s_mov_b32 s57, 0
	s_branch .LBB5_1236
.LBB5_1234:                             ;   in Loop: Header=BB5_1189 Depth=2
	v_mov_b32_e32 v21, 0
	v_mov_b32_e32 v22, 0
.LBB5_1235:                             ;   in Loop: Header=BB5_1189 Depth=2
	s_mov_b64 s[52:53], s[4:5]
	s_mov_b32 s57, 0
	s_cbranch_execnz .LBB5_1237
.LBB5_1236:                             ;   in Loop: Header=BB5_1189 Depth=2
	global_load_dwordx2 v[21:22], v2, s[4:5]
	s_add_i32 s57, s56, -8
.LBB5_1237:                             ;   in Loop: Header=BB5_1189 Depth=2
	s_cmp_gt_u32 s57, 7
	s_cbranch_scc1 .LBB5_1241
; %bb.1238:                             ;   in Loop: Header=BB5_1189 Depth=2
	s_cmp_eq_u32 s57, 0
	s_cbranch_scc1 .LBB5_1242
; %bb.1239:                             ;   in Loop: Header=BB5_1189 Depth=2
	v_mov_b32_e32 v23, 0
	s_mov_b64 s[4:5], 0
	v_mov_b32_e32 v24, 0
	s_mov_b64 s[54:55], s[52:53]
.LBB5_1240:                             ;   Parent Loop BB5_280 Depth=1
                                        ;     Parent Loop BB5_1189 Depth=2
                                        ; =>    This Inner Loop Header: Depth=3
	global_load_ubyte v1, v2, s[54:55]
	s_add_i32 s57, s57, -1
	s_waitcnt vmcnt(0)
	v_and_b32_e32 v1, 0xffff, v1
	v_lshlrev_b64 v[3:4], s4, v[1:2]
	s_add_u32 s4, s4, 8
	s_addc_u32 s5, s5, 0
	s_add_u32 s54, s54, 1
	s_addc_u32 s55, s55, 0
	v_or_b32_e32 v23, v3, v23
	s_cmp_lg_u32 s57, 0
	v_or_b32_e32 v24, v4, v24
	s_cbranch_scc1 .LBB5_1240
	s_branch .LBB5_1243
.LBB5_1241:                             ;   in Loop: Header=BB5_1189 Depth=2
	s_branch .LBB5_1244
.LBB5_1242:                             ;   in Loop: Header=BB5_1189 Depth=2
	v_mov_b32_e32 v23, 0
	v_mov_b32_e32 v24, 0
.LBB5_1243:                             ;   in Loop: Header=BB5_1189 Depth=2
	s_cbranch_execnz .LBB5_1245
.LBB5_1244:                             ;   in Loop: Header=BB5_1189 Depth=2
	global_load_dwordx2 v[23:24], v2, s[52:53]
.LBB5_1245:                             ;   in Loop: Header=BB5_1189 Depth=2
	v_readfirstlane_b32 s4, v45
	v_mov_b32_e32 v3, 0
	v_mov_b32_e32 v4, 0
	v_cmp_eq_u32_e64 s[4:5], s4, v45
	s_and_saveexec_b64 s[52:53], s[4:5]
	s_cbranch_execz .LBB5_1251
; %bb.1246:                             ;   in Loop: Header=BB5_1189 Depth=2
	global_load_dwordx2 v[27:28], v2, s[34:35] offset:24 glc
	s_waitcnt vmcnt(0)
	buffer_wbinvl1_vol
	global_load_dwordx2 v[3:4], v2, s[34:35] offset:40
	global_load_dwordx2 v[25:26], v2, s[34:35]
	s_waitcnt vmcnt(1)
	v_and_b32_e32 v1, v3, v27
	v_and_b32_e32 v3, v4, v28
	v_mul_lo_u32 v3, v3, 24
	v_mul_hi_u32 v4, v1, 24
	v_mul_lo_u32 v1, v1, 24
	v_add_u32_e32 v4, v4, v3
	s_waitcnt vmcnt(0)
	v_add_co_u32_e32 v3, vcc, v25, v1
	v_addc_co_u32_e32 v4, vcc, v26, v4, vcc
	global_load_dwordx2 v[25:26], v[3:4], off glc
	s_waitcnt vmcnt(0)
	global_atomic_cmpswap_x2 v[3:4], v2, v[25:28], s[34:35] offset:24 glc
	s_waitcnt vmcnt(0)
	buffer_wbinvl1_vol
	v_cmp_ne_u64_e32 vcc, v[3:4], v[27:28]
	s_and_saveexec_b64 s[54:55], vcc
	s_cbranch_execz .LBB5_1250
; %bb.1247:                             ;   in Loop: Header=BB5_1189 Depth=2
	s_mov_b64 s[56:57], 0
.LBB5_1248:                             ;   Parent Loop BB5_280 Depth=1
                                        ;     Parent Loop BB5_1189 Depth=2
                                        ; =>    This Inner Loop Header: Depth=3
	s_sleep 1
	global_load_dwordx2 v[25:26], v2, s[34:35] offset:40
	global_load_dwordx2 v[29:30], v2, s[34:35]
	v_mov_b32_e32 v28, v4
	v_mov_b32_e32 v27, v3
	s_waitcnt vmcnt(1)
	v_and_b32_e32 v1, v25, v27
	s_waitcnt vmcnt(0)
	v_mad_u64_u32 v[3:4], s[58:59], v1, 24, v[29:30]
	v_and_b32_e32 v25, v26, v28
	v_mov_b32_e32 v1, v4
	v_mad_u64_u32 v[25:26], s[58:59], v25, 24, v[1:2]
	v_mov_b32_e32 v4, v25
	global_load_dwordx2 v[25:26], v[3:4], off glc
	s_waitcnt vmcnt(0)
	global_atomic_cmpswap_x2 v[3:4], v2, v[25:28], s[34:35] offset:24 glc
	s_waitcnt vmcnt(0)
	buffer_wbinvl1_vol
	v_cmp_eq_u64_e32 vcc, v[3:4], v[27:28]
	s_or_b64 s[56:57], vcc, s[56:57]
	s_andn2_b64 exec, exec, s[56:57]
	s_cbranch_execnz .LBB5_1248
; %bb.1249:                             ;   in Loop: Header=BB5_1189 Depth=2
	s_or_b64 exec, exec, s[56:57]
.LBB5_1250:                             ;   in Loop: Header=BB5_1189 Depth=2
	s_or_b64 exec, exec, s[54:55]
.LBB5_1251:                             ;   in Loop: Header=BB5_1189 Depth=2
	s_or_b64 exec, exec, s[52:53]
	global_load_dwordx2 v[29:30], v2, s[34:35] offset:40
	global_load_dwordx4 v[25:28], v2, s[34:35]
	v_readfirstlane_b32 s53, v4
	v_readfirstlane_b32 s52, v3
	s_mov_b64 s[54:55], exec
	s_waitcnt vmcnt(1)
	v_readfirstlane_b32 s56, v29
	v_readfirstlane_b32 s57, v30
	s_and_b64 s[56:57], s[56:57], s[52:53]
	s_mul_i32 s58, s57, 24
	s_mul_hi_u32 s59, s56, 24
	s_mul_i32 s61, s56, 24
	s_add_i32 s58, s59, s58
	v_mov_b32_e32 v1, s58
	s_waitcnt vmcnt(0)
	v_add_co_u32_e32 v29, vcc, s61, v25
	v_addc_co_u32_e32 v30, vcc, v26, v1, vcc
	s_and_saveexec_b64 s[58:59], s[4:5]
	s_cbranch_execz .LBB5_1253
; %bb.1252:                             ;   in Loop: Header=BB5_1189 Depth=2
	v_mov_b32_e32 v3, s54
	v_mov_b32_e32 v4, s55
	global_store_dwordx4 v[29:30], v[3:6], off offset:8
.LBB5_1253:                             ;   in Loop: Header=BB5_1189 Depth=2
	s_or_b64 exec, exec, s[58:59]
	s_lshl_b64 s[54:55], s[56:57], 12
	v_cmp_gt_u64_e64 s[56:57], s[28:29], 56
	v_mov_b32_e32 v1, s55
	v_add_co_u32_e32 v27, vcc, s54, v27
	s_and_b64 s[54:55], s[56:57], exec
	s_cselect_b32 s54, 0, 2
	s_lshl_b32 s55, s30, 2
	v_addc_co_u32_e32 v28, vcc, v28, v1, vcc
	s_add_i32 s55, s55, 28
	v_and_b32_e32 v1, 0xffffff1f, v9
	s_and_b32 s55, s55, 0x1e0
	v_or_b32_e32 v1, s54, v1
	v_or_b32_e32 v9, s55, v1
	v_readfirstlane_b32 s54, v27
	v_readfirstlane_b32 s55, v28
	s_nop 4
	global_store_dwordx4 v44, v[9:12], s[54:55]
	global_store_dwordx4 v44, v[13:16], s[54:55] offset:16
	global_store_dwordx4 v44, v[17:20], s[54:55] offset:32
	;; [unrolled: 1-line block ×3, first 2 shown]
	s_and_saveexec_b64 s[54:55], s[4:5]
	s_cbranch_execz .LBB5_1261
; %bb.1254:                             ;   in Loop: Header=BB5_1189 Depth=2
	global_load_dwordx2 v[13:14], v2, s[34:35] offset:32 glc
	global_load_dwordx2 v[3:4], v2, s[34:35] offset:40
	v_mov_b32_e32 v11, s52
	v_mov_b32_e32 v12, s53
	s_waitcnt vmcnt(0)
	v_readfirstlane_b32 s56, v3
	v_readfirstlane_b32 s57, v4
	s_and_b64 s[56:57], s[56:57], s[52:53]
	s_mul_i32 s57, s57, 24
	s_mul_hi_u32 s58, s56, 24
	s_mul_i32 s56, s56, 24
	s_add_i32 s57, s58, s57
	v_mov_b32_e32 v1, s57
	v_add_co_u32_e32 v3, vcc, s56, v25
	v_addc_co_u32_e32 v4, vcc, v26, v1, vcc
	global_store_dwordx2 v[3:4], v[13:14], off
	s_waitcnt vmcnt(0)
	global_atomic_cmpswap_x2 v[11:12], v2, v[11:14], s[34:35] offset:32 glc
	s_waitcnt vmcnt(0)
	v_cmp_ne_u64_e32 vcc, v[11:12], v[13:14]
	s_and_saveexec_b64 s[56:57], vcc
	s_cbranch_execz .LBB5_1257
; %bb.1255:                             ;   in Loop: Header=BB5_1189 Depth=2
	s_mov_b64 s[58:59], 0
.LBB5_1256:                             ;   Parent Loop BB5_280 Depth=1
                                        ;     Parent Loop BB5_1189 Depth=2
                                        ; =>    This Inner Loop Header: Depth=3
	s_sleep 1
	global_store_dwordx2 v[3:4], v[11:12], off
	v_mov_b32_e32 v9, s52
	v_mov_b32_e32 v10, s53
	s_waitcnt vmcnt(0)
	global_atomic_cmpswap_x2 v[9:10], v2, v[9:12], s[34:35] offset:32 glc
	s_waitcnt vmcnt(0)
	v_cmp_eq_u64_e32 vcc, v[9:10], v[11:12]
	v_mov_b32_e32 v12, v10
	s_or_b64 s[58:59], vcc, s[58:59]
	v_mov_b32_e32 v11, v9
	s_andn2_b64 exec, exec, s[58:59]
	s_cbranch_execnz .LBB5_1256
.LBB5_1257:                             ;   in Loop: Header=BB5_1189 Depth=2
	s_or_b64 exec, exec, s[56:57]
	global_load_dwordx2 v[3:4], v2, s[34:35] offset:16
	s_mov_b64 s[58:59], exec
	v_mbcnt_lo_u32_b32 v1, s58, 0
	v_mbcnt_hi_u32_b32 v1, s59, v1
	v_cmp_eq_u32_e32 vcc, 0, v1
	s_and_saveexec_b64 s[56:57], vcc
	s_cbranch_execz .LBB5_1259
; %bb.1258:                             ;   in Loop: Header=BB5_1189 Depth=2
	s_bcnt1_i32_b64 s58, s[58:59]
	v_mov_b32_e32 v1, s58
	s_waitcnt vmcnt(0)
	global_atomic_add_x2 v[3:4], v[1:2], off offset:8
.LBB5_1259:                             ;   in Loop: Header=BB5_1189 Depth=2
	s_or_b64 exec, exec, s[56:57]
	s_waitcnt vmcnt(0)
	global_load_dwordx2 v[9:10], v[3:4], off offset:16
	s_waitcnt vmcnt(0)
	v_cmp_eq_u64_e32 vcc, 0, v[9:10]
	s_cbranch_vccnz .LBB5_1261
; %bb.1260:                             ;   in Loop: Header=BB5_1189 Depth=2
	global_load_dword v1, v[3:4], off offset:24
	s_waitcnt vmcnt(0)
	v_readfirstlane_b32 s56, v1
	s_and_b32 m0, s56, 0xffffff
	global_store_dwordx2 v[9:10], v[1:2], off
	s_sendmsg sendmsg(MSG_INTERRUPT)
.LBB5_1261:                             ;   in Loop: Header=BB5_1189 Depth=2
	s_or_b64 exec, exec, s[54:55]
	v_add_co_u32_e32 v3, vcc, v27, v44
	v_addc_co_u32_e32 v4, vcc, 0, v28, vcc
	s_branch .LBB5_1265
.LBB5_1262:                             ;   in Loop: Header=BB5_1265 Depth=3
	s_or_b64 exec, exec, s[54:55]
	v_readfirstlane_b32 s54, v1
	s_cmp_eq_u32 s54, 0
	s_cbranch_scc1 .LBB5_1264
; %bb.1263:                             ;   in Loop: Header=BB5_1265 Depth=3
	s_sleep 1
	s_cbranch_execnz .LBB5_1265
	s_branch .LBB5_1267
.LBB5_1264:                             ;   in Loop: Header=BB5_1189 Depth=2
	s_branch .LBB5_1267
.LBB5_1265:                             ;   Parent Loop BB5_280 Depth=1
                                        ;     Parent Loop BB5_1189 Depth=2
                                        ; =>    This Inner Loop Header: Depth=3
	v_mov_b32_e32 v1, 1
	s_and_saveexec_b64 s[54:55], s[4:5]
	s_cbranch_execz .LBB5_1262
; %bb.1266:                             ;   in Loop: Header=BB5_1265 Depth=3
	global_load_dword v1, v[29:30], off offset:20 glc
	s_waitcnt vmcnt(0)
	buffer_wbinvl1_vol
	v_and_b32_e32 v1, 1, v1
	s_branch .LBB5_1262
.LBB5_1267:                             ;   in Loop: Header=BB5_1189 Depth=2
	global_load_dwordx4 v[9:12], v[3:4], off
	s_and_saveexec_b64 s[54:55], s[4:5]
	s_cbranch_execz .LBB5_1188
; %bb.1268:                             ;   in Loop: Header=BB5_1189 Depth=2
	global_load_dwordx2 v[3:4], v2, s[34:35] offset:40
	global_load_dwordx2 v[15:16], v2, s[34:35] offset:24 glc
	global_load_dwordx2 v[11:12], v2, s[34:35]
	s_waitcnt vmcnt(2)
	v_readfirstlane_b32 s56, v3
	v_readfirstlane_b32 s57, v4
	s_add_u32 s58, s56, 1
	s_addc_u32 s59, s57, 0
	s_add_u32 s4, s58, s52
	s_addc_u32 s5, s59, s53
	s_cmp_eq_u64 s[4:5], 0
	s_cselect_b32 s5, s59, s5
	s_cselect_b32 s4, s58, s4
	s_and_b64 s[52:53], s[4:5], s[56:57]
	s_mul_i32 s53, s53, 24
	s_mul_hi_u32 s56, s52, 24
	s_mul_i32 s52, s52, 24
	s_add_i32 s53, s56, s53
	v_mov_b32_e32 v1, s53
	s_waitcnt vmcnt(0)
	v_add_co_u32_e32 v3, vcc, s52, v11
	v_addc_co_u32_e32 v4, vcc, v12, v1, vcc
	v_mov_b32_e32 v13, s4
	global_store_dwordx2 v[3:4], v[15:16], off
	v_mov_b32_e32 v14, s5
	s_waitcnt vmcnt(0)
	global_atomic_cmpswap_x2 v[13:14], v2, v[13:16], s[34:35] offset:24 glc
	s_waitcnt vmcnt(0)
	v_cmp_ne_u64_e32 vcc, v[13:14], v[15:16]
	s_and_b64 exec, exec, vcc
	s_cbranch_execz .LBB5_1188
; %bb.1269:                             ;   in Loop: Header=BB5_1189 Depth=2
	s_mov_b64 s[52:53], 0
.LBB5_1270:                             ;   Parent Loop BB5_280 Depth=1
                                        ;     Parent Loop BB5_1189 Depth=2
                                        ; =>    This Inner Loop Header: Depth=3
	s_sleep 1
	global_store_dwordx2 v[3:4], v[13:14], off
	v_mov_b32_e32 v11, s4
	v_mov_b32_e32 v12, s5
	s_waitcnt vmcnt(0)
	global_atomic_cmpswap_x2 v[11:12], v2, v[11:14], s[34:35] offset:24 glc
	s_waitcnt vmcnt(0)
	v_cmp_eq_u64_e32 vcc, v[11:12], v[13:14]
	v_mov_b32_e32 v14, v12
	s_or_b64 s[52:53], vcc, s[52:53]
	v_mov_b32_e32 v13, v11
	s_andn2_b64 exec, exec, s[52:53]
	s_cbranch_execnz .LBB5_1270
	s_branch .LBB5_1188
.LBB5_1271:                             ;   in Loop: Header=BB5_280 Depth=1
	s_branch .LBB5_1300
.LBB5_1272:                             ;   in Loop: Header=BB5_280 Depth=1
	s_cbranch_execz .LBB5_1300
; %bb.1273:                             ;   in Loop: Header=BB5_280 Depth=1
	v_readfirstlane_b32 s4, v45
	v_mov_b32_e32 v3, 0
	v_mov_b32_e32 v4, 0
	v_cmp_eq_u32_e64 s[4:5], s4, v45
	s_and_saveexec_b64 s[24:25], s[4:5]
	s_cbranch_execz .LBB5_1279
; %bb.1274:                             ;   in Loop: Header=BB5_280 Depth=1
	global_load_dwordx2 v[11:12], v2, s[34:35] offset:24 glc
	s_waitcnt vmcnt(0)
	buffer_wbinvl1_vol
	global_load_dwordx2 v[3:4], v2, s[34:35] offset:40
	global_load_dwordx2 v[9:10], v2, s[34:35]
	s_waitcnt vmcnt(1)
	v_and_b32_e32 v1, v3, v11
	v_and_b32_e32 v3, v4, v12
	v_mul_lo_u32 v3, v3, 24
	v_mul_hi_u32 v4, v1, 24
	v_mul_lo_u32 v1, v1, 24
	v_add_u32_e32 v4, v4, v3
	s_waitcnt vmcnt(0)
	v_add_co_u32_e32 v3, vcc, v9, v1
	v_addc_co_u32_e32 v4, vcc, v10, v4, vcc
	global_load_dwordx2 v[9:10], v[3:4], off glc
	s_waitcnt vmcnt(0)
	global_atomic_cmpswap_x2 v[3:4], v2, v[9:12], s[34:35] offset:24 glc
	s_waitcnt vmcnt(0)
	buffer_wbinvl1_vol
	v_cmp_ne_u64_e32 vcc, v[3:4], v[11:12]
	s_and_saveexec_b64 s[28:29], vcc
	s_cbranch_execz .LBB5_1278
; %bb.1275:                             ;   in Loop: Header=BB5_280 Depth=1
	s_mov_b64 s[30:31], 0
.LBB5_1276:                             ;   Parent Loop BB5_280 Depth=1
                                        ; =>  This Inner Loop Header: Depth=2
	s_sleep 1
	global_load_dwordx2 v[9:10], v2, s[34:35] offset:40
	global_load_dwordx2 v[13:14], v2, s[34:35]
	v_mov_b32_e32 v12, v4
	v_mov_b32_e32 v11, v3
	s_waitcnt vmcnt(1)
	v_and_b32_e32 v1, v9, v11
	s_waitcnt vmcnt(0)
	v_mad_u64_u32 v[3:4], s[52:53], v1, 24, v[13:14]
	v_and_b32_e32 v9, v10, v12
	v_mov_b32_e32 v1, v4
	v_mad_u64_u32 v[9:10], s[52:53], v9, 24, v[1:2]
	v_mov_b32_e32 v4, v9
	global_load_dwordx2 v[9:10], v[3:4], off glc
	s_waitcnt vmcnt(0)
	global_atomic_cmpswap_x2 v[3:4], v2, v[9:12], s[34:35] offset:24 glc
	s_waitcnt vmcnt(0)
	buffer_wbinvl1_vol
	v_cmp_eq_u64_e32 vcc, v[3:4], v[11:12]
	s_or_b64 s[30:31], vcc, s[30:31]
	s_andn2_b64 exec, exec, s[30:31]
	s_cbranch_execnz .LBB5_1276
; %bb.1277:                             ;   in Loop: Header=BB5_280 Depth=1
	s_or_b64 exec, exec, s[30:31]
.LBB5_1278:                             ;   in Loop: Header=BB5_280 Depth=1
	s_or_b64 exec, exec, s[28:29]
.LBB5_1279:                             ;   in Loop: Header=BB5_280 Depth=1
	s_or_b64 exec, exec, s[24:25]
	global_load_dwordx2 v[9:10], v2, s[34:35] offset:40
	global_load_dwordx4 v[11:14], v2, s[34:35]
	v_readfirstlane_b32 s25, v4
	v_readfirstlane_b32 s24, v3
	s_mov_b64 s[28:29], exec
	s_waitcnt vmcnt(1)
	v_readfirstlane_b32 s30, v9
	v_readfirstlane_b32 s31, v10
	s_and_b64 s[30:31], s[30:31], s[24:25]
	s_mul_i32 s52, s31, 24
	s_mul_hi_u32 s53, s30, 24
	s_mul_i32 s54, s30, 24
	s_add_i32 s52, s53, s52
	v_mov_b32_e32 v1, s52
	s_waitcnt vmcnt(0)
	v_add_co_u32_e32 v15, vcc, s54, v11
	v_addc_co_u32_e32 v16, vcc, v12, v1, vcc
	s_and_saveexec_b64 s[52:53], s[4:5]
	s_cbranch_execz .LBB5_1281
; %bb.1280:                             ;   in Loop: Header=BB5_280 Depth=1
	v_mov_b32_e32 v3, s28
	v_mov_b32_e32 v4, s29
	global_store_dwordx4 v[15:16], v[3:6], off offset:8
.LBB5_1281:                             ;   in Loop: Header=BB5_280 Depth=1
	s_or_b64 exec, exec, s[52:53]
	s_lshl_b64 s[28:29], s[30:31], 12
	v_mov_b32_e32 v1, s29
	v_add_co_u32_e32 v3, vcc, s28, v13
	v_addc_co_u32_e32 v1, vcc, v14, v1, vcc
	v_and_or_b32 v7, v7, s60, 34
	v_mov_b32_e32 v9, v2
	v_mov_b32_e32 v10, v2
	v_readfirstlane_b32 s28, v3
	v_readfirstlane_b32 s29, v1
	s_nop 4
	global_store_dwordx4 v44, v[7:10], s[28:29]
	s_nop 0
	v_mov_b32_e32 v7, s8
	v_mov_b32_e32 v8, s9
	;; [unrolled: 1-line block ×4, first 2 shown]
	global_store_dwordx4 v44, v[7:10], s[28:29] offset:16
	global_store_dwordx4 v44, v[7:10], s[28:29] offset:32
	;; [unrolled: 1-line block ×3, first 2 shown]
	s_and_saveexec_b64 s[28:29], s[4:5]
	s_cbranch_execz .LBB5_1289
; %bb.1282:                             ;   in Loop: Header=BB5_280 Depth=1
	global_load_dwordx2 v[19:20], v2, s[34:35] offset:32 glc
	global_load_dwordx2 v[3:4], v2, s[34:35] offset:40
	v_mov_b32_e32 v17, s24
	v_mov_b32_e32 v18, s25
	s_waitcnt vmcnt(0)
	v_readfirstlane_b32 s30, v3
	v_readfirstlane_b32 s31, v4
	s_and_b64 s[30:31], s[30:31], s[24:25]
	s_mul_i32 s31, s31, 24
	s_mul_hi_u32 s52, s30, 24
	s_mul_i32 s30, s30, 24
	s_add_i32 s31, s52, s31
	v_mov_b32_e32 v1, s31
	v_add_co_u32_e32 v3, vcc, s30, v11
	v_addc_co_u32_e32 v4, vcc, v12, v1, vcc
	global_store_dwordx2 v[3:4], v[19:20], off
	s_waitcnt vmcnt(0)
	global_atomic_cmpswap_x2 v[9:10], v2, v[17:20], s[34:35] offset:32 glc
	s_waitcnt vmcnt(0)
	v_cmp_ne_u64_e32 vcc, v[9:10], v[19:20]
	s_and_saveexec_b64 s[30:31], vcc
	s_cbranch_execz .LBB5_1285
; %bb.1283:                             ;   in Loop: Header=BB5_280 Depth=1
	s_mov_b64 s[52:53], 0
.LBB5_1284:                             ;   Parent Loop BB5_280 Depth=1
                                        ; =>  This Inner Loop Header: Depth=2
	s_sleep 1
	global_store_dwordx2 v[3:4], v[9:10], off
	v_mov_b32_e32 v7, s24
	v_mov_b32_e32 v8, s25
	s_waitcnt vmcnt(0)
	global_atomic_cmpswap_x2 v[7:8], v2, v[7:10], s[34:35] offset:32 glc
	s_waitcnt vmcnt(0)
	v_cmp_eq_u64_e32 vcc, v[7:8], v[9:10]
	v_mov_b32_e32 v10, v8
	s_or_b64 s[52:53], vcc, s[52:53]
	v_mov_b32_e32 v9, v7
	s_andn2_b64 exec, exec, s[52:53]
	s_cbranch_execnz .LBB5_1284
.LBB5_1285:                             ;   in Loop: Header=BB5_280 Depth=1
	s_or_b64 exec, exec, s[30:31]
	global_load_dwordx2 v[3:4], v2, s[34:35] offset:16
	s_mov_b64 s[52:53], exec
	v_mbcnt_lo_u32_b32 v1, s52, 0
	v_mbcnt_hi_u32_b32 v1, s53, v1
	v_cmp_eq_u32_e32 vcc, 0, v1
	s_and_saveexec_b64 s[30:31], vcc
	s_cbranch_execz .LBB5_1287
; %bb.1286:                             ;   in Loop: Header=BB5_280 Depth=1
	s_bcnt1_i32_b64 s52, s[52:53]
	v_mov_b32_e32 v1, s52
	s_waitcnt vmcnt(0)
	global_atomic_add_x2 v[3:4], v[1:2], off offset:8
.LBB5_1287:                             ;   in Loop: Header=BB5_280 Depth=1
	s_or_b64 exec, exec, s[30:31]
	s_waitcnt vmcnt(0)
	global_load_dwordx2 v[7:8], v[3:4], off offset:16
	s_waitcnt vmcnt(0)
	v_cmp_eq_u64_e32 vcc, 0, v[7:8]
	s_cbranch_vccnz .LBB5_1289
; %bb.1288:                             ;   in Loop: Header=BB5_280 Depth=1
	global_load_dword v1, v[3:4], off offset:24
	s_waitcnt vmcnt(0)
	v_readfirstlane_b32 s30, v1
	s_and_b32 m0, s30, 0xffffff
	global_store_dwordx2 v[7:8], v[1:2], off
	s_sendmsg sendmsg(MSG_INTERRUPT)
.LBB5_1289:                             ;   in Loop: Header=BB5_280 Depth=1
	s_or_b64 exec, exec, s[28:29]
	s_branch .LBB5_1293
.LBB5_1290:                             ;   in Loop: Header=BB5_1293 Depth=2
	s_or_b64 exec, exec, s[28:29]
	v_readfirstlane_b32 s28, v1
	s_cmp_eq_u32 s28, 0
	s_cbranch_scc1 .LBB5_1292
; %bb.1291:                             ;   in Loop: Header=BB5_1293 Depth=2
	s_sleep 1
	s_cbranch_execnz .LBB5_1293
	s_branch .LBB5_1295
.LBB5_1292:                             ;   in Loop: Header=BB5_280 Depth=1
	s_branch .LBB5_1295
.LBB5_1293:                             ;   Parent Loop BB5_280 Depth=1
                                        ; =>  This Inner Loop Header: Depth=2
	v_mov_b32_e32 v1, 1
	s_and_saveexec_b64 s[28:29], s[4:5]
	s_cbranch_execz .LBB5_1290
; %bb.1294:                             ;   in Loop: Header=BB5_1293 Depth=2
	global_load_dword v1, v[15:16], off offset:20 glc
	s_waitcnt vmcnt(0)
	buffer_wbinvl1_vol
	v_and_b32_e32 v1, 1, v1
	s_branch .LBB5_1290
.LBB5_1295:                             ;   in Loop: Header=BB5_280 Depth=1
	s_and_saveexec_b64 s[28:29], s[4:5]
	s_cbranch_execz .LBB5_1299
; %bb.1296:                             ;   in Loop: Header=BB5_280 Depth=1
	global_load_dwordx2 v[3:4], v2, s[34:35] offset:40
	global_load_dwordx2 v[11:12], v2, s[34:35] offset:24 glc
	global_load_dwordx2 v[7:8], v2, s[34:35]
	s_waitcnt vmcnt(2)
	v_readfirstlane_b32 s30, v3
	v_readfirstlane_b32 s31, v4
	s_add_u32 s52, s30, 1
	s_addc_u32 s53, s31, 0
	s_add_u32 s4, s52, s24
	s_addc_u32 s5, s53, s25
	s_cmp_eq_u64 s[4:5], 0
	s_cselect_b32 s5, s53, s5
	s_cselect_b32 s4, s52, s4
	s_and_b64 s[24:25], s[4:5], s[30:31]
	s_mul_i32 s25, s25, 24
	s_mul_hi_u32 s30, s24, 24
	s_mul_i32 s24, s24, 24
	s_add_i32 s25, s30, s25
	v_mov_b32_e32 v1, s25
	s_waitcnt vmcnt(0)
	v_add_co_u32_e32 v3, vcc, s24, v7
	v_addc_co_u32_e32 v4, vcc, v8, v1, vcc
	v_mov_b32_e32 v9, s4
	global_store_dwordx2 v[3:4], v[11:12], off
	v_mov_b32_e32 v10, s5
	s_waitcnt vmcnt(0)
	global_atomic_cmpswap_x2 v[9:10], v2, v[9:12], s[34:35] offset:24 glc
	s_waitcnt vmcnt(0)
	v_cmp_ne_u64_e32 vcc, v[9:10], v[11:12]
	s_and_b64 exec, exec, vcc
	s_cbranch_execz .LBB5_1299
; %bb.1297:                             ;   in Loop: Header=BB5_280 Depth=1
	s_mov_b64 s[24:25], 0
.LBB5_1298:                             ;   Parent Loop BB5_280 Depth=1
                                        ; =>  This Inner Loop Header: Depth=2
	s_sleep 1
	global_store_dwordx2 v[3:4], v[9:10], off
	v_mov_b32_e32 v7, s4
	v_mov_b32_e32 v8, s5
	s_waitcnt vmcnt(0)
	global_atomic_cmpswap_x2 v[7:8], v2, v[7:10], s[34:35] offset:24 glc
	s_waitcnt vmcnt(0)
	v_cmp_eq_u64_e32 vcc, v[7:8], v[9:10]
	v_mov_b32_e32 v10, v8
	s_or_b64 s[24:25], vcc, s[24:25]
	v_mov_b32_e32 v9, v7
	s_andn2_b64 exec, exec, s[24:25]
	s_cbranch_execnz .LBB5_1298
.LBB5_1299:                             ;   in Loop: Header=BB5_280 Depth=1
	s_or_b64 exec, exec, s[28:29]
.LBB5_1300:                             ;   in Loop: Header=BB5_280 Depth=1
	s_add_u32 s4, s50, s22
	s_addc_u32 s5, s51, s23
	global_load_dword v31, v2, s[4:5]
	v_readfirstlane_b32 s4, v45
	v_mov_b32_e32 v3, 0
	v_mov_b32_e32 v4, 0
	v_cmp_eq_u32_e64 s[4:5], s4, v45
	s_and_saveexec_b64 s[22:23], s[4:5]
	s_cbranch_execz .LBB5_1306
; %bb.1301:                             ;   in Loop: Header=BB5_280 Depth=1
	global_load_dwordx2 v[9:10], v2, s[34:35] offset:24 glc
	s_waitcnt vmcnt(0)
	buffer_wbinvl1_vol
	global_load_dwordx2 v[3:4], v2, s[34:35] offset:40
	global_load_dwordx2 v[7:8], v2, s[34:35]
	s_waitcnt vmcnt(1)
	v_and_b32_e32 v1, v3, v9
	v_and_b32_e32 v3, v4, v10
	v_mul_lo_u32 v3, v3, 24
	v_mul_hi_u32 v4, v1, 24
	v_mul_lo_u32 v1, v1, 24
	v_add_u32_e32 v4, v4, v3
	s_waitcnt vmcnt(0)
	v_add_co_u32_e32 v3, vcc, v7, v1
	v_addc_co_u32_e32 v4, vcc, v8, v4, vcc
	global_load_dwordx2 v[7:8], v[3:4], off glc
	s_waitcnt vmcnt(0)
	global_atomic_cmpswap_x2 v[3:4], v2, v[7:10], s[34:35] offset:24 glc
	s_waitcnt vmcnt(0)
	buffer_wbinvl1_vol
	v_cmp_ne_u64_e32 vcc, v[3:4], v[9:10]
	s_and_saveexec_b64 s[24:25], vcc
	s_cbranch_execz .LBB5_1305
; %bb.1302:                             ;   in Loop: Header=BB5_280 Depth=1
	s_mov_b64 s[28:29], 0
.LBB5_1303:                             ;   Parent Loop BB5_280 Depth=1
                                        ; =>  This Inner Loop Header: Depth=2
	s_sleep 1
	global_load_dwordx2 v[7:8], v2, s[34:35] offset:40
	global_load_dwordx2 v[11:12], v2, s[34:35]
	v_mov_b32_e32 v10, v4
	v_mov_b32_e32 v9, v3
	s_waitcnt vmcnt(1)
	v_and_b32_e32 v1, v7, v9
	s_waitcnt vmcnt(0)
	v_mad_u64_u32 v[3:4], s[30:31], v1, 24, v[11:12]
	v_and_b32_e32 v7, v8, v10
	v_mov_b32_e32 v1, v4
	v_mad_u64_u32 v[7:8], s[30:31], v7, 24, v[1:2]
	v_mov_b32_e32 v4, v7
	global_load_dwordx2 v[7:8], v[3:4], off glc
	s_waitcnt vmcnt(0)
	global_atomic_cmpswap_x2 v[3:4], v2, v[7:10], s[34:35] offset:24 glc
	s_waitcnt vmcnt(0)
	buffer_wbinvl1_vol
	v_cmp_eq_u64_e32 vcc, v[3:4], v[9:10]
	s_or_b64 s[28:29], vcc, s[28:29]
	s_andn2_b64 exec, exec, s[28:29]
	s_cbranch_execnz .LBB5_1303
; %bb.1304:                             ;   in Loop: Header=BB5_280 Depth=1
	s_or_b64 exec, exec, s[28:29]
.LBB5_1305:                             ;   in Loop: Header=BB5_280 Depth=1
	s_or_b64 exec, exec, s[24:25]
.LBB5_1306:                             ;   in Loop: Header=BB5_280 Depth=1
	s_or_b64 exec, exec, s[22:23]
	global_load_dwordx2 v[11:12], v2, s[34:35] offset:40
	global_load_dwordx4 v[7:10], v2, s[34:35]
	v_readfirstlane_b32 s23, v4
	v_readfirstlane_b32 s22, v3
	s_mov_b64 s[24:25], exec
	s_waitcnt vmcnt(1)
	v_readfirstlane_b32 s28, v11
	v_readfirstlane_b32 s29, v12
	s_and_b64 s[28:29], s[28:29], s[22:23]
	s_mul_i32 s30, s29, 24
	s_mul_hi_u32 s31, s28, 24
	s_mul_i32 s52, s28, 24
	s_add_i32 s30, s31, s30
	v_mov_b32_e32 v1, s30
	s_waitcnt vmcnt(0)
	v_add_co_u32_e32 v11, vcc, s52, v7
	v_addc_co_u32_e32 v12, vcc, v8, v1, vcc
	s_and_saveexec_b64 s[30:31], s[4:5]
	s_cbranch_execz .LBB5_1308
; %bb.1307:                             ;   in Loop: Header=BB5_280 Depth=1
	v_mov_b32_e32 v3, s24
	v_mov_b32_e32 v4, s25
	global_store_dwordx4 v[11:12], v[3:6], off offset:8
.LBB5_1308:                             ;   in Loop: Header=BB5_280 Depth=1
	s_or_b64 exec, exec, s[30:31]
	s_lshl_b64 s[24:25], s[28:29], 12
	v_mov_b32_e32 v1, s25
	v_add_co_u32_e32 v13, vcc, s24, v9
	v_addc_co_u32_e32 v14, vcc, v10, v1, vcc
	v_mov_b32_e32 v18, s11
	v_mov_b32_e32 v1, v2
	;; [unrolled: 1-line block ×3, first 2 shown]
	v_readfirstlane_b32 s24, v13
	v_readfirstlane_b32 s25, v14
	v_mov_b32_e32 v17, s10
	v_mov_b32_e32 v16, s9
	;; [unrolled: 1-line block ×3, first 2 shown]
	s_nop 1
	global_store_dwordx4 v44, v[0:3], s[24:25]
	global_store_dwordx4 v44, v[15:18], s[24:25] offset:16
	global_store_dwordx4 v44, v[15:18], s[24:25] offset:32
	;; [unrolled: 1-line block ×3, first 2 shown]
	s_and_saveexec_b64 s[24:25], s[4:5]
	s_cbranch_execz .LBB5_1316
; %bb.1309:                             ;   in Loop: Header=BB5_280 Depth=1
	global_load_dwordx2 v[17:18], v2, s[34:35] offset:32 glc
	global_load_dwordx2 v[3:4], v2, s[34:35] offset:40
	v_mov_b32_e32 v15, s22
	v_mov_b32_e32 v16, s23
	s_waitcnt vmcnt(0)
	v_readfirstlane_b32 s28, v3
	v_readfirstlane_b32 s29, v4
	s_and_b64 s[28:29], s[28:29], s[22:23]
	s_mul_i32 s29, s29, 24
	s_mul_hi_u32 s30, s28, 24
	s_mul_i32 s28, s28, 24
	s_add_i32 s29, s30, s29
	v_mov_b32_e32 v1, s29
	v_add_co_u32_e32 v3, vcc, s28, v7
	v_addc_co_u32_e32 v4, vcc, v8, v1, vcc
	global_store_dwordx2 v[3:4], v[17:18], off
	s_waitcnt vmcnt(0)
	global_atomic_cmpswap_x2 v[9:10], v2, v[15:18], s[34:35] offset:32 glc
	s_waitcnt vmcnt(0)
	v_cmp_ne_u64_e32 vcc, v[9:10], v[17:18]
	s_and_saveexec_b64 s[28:29], vcc
	s_cbranch_execz .LBB5_1312
; %bb.1310:                             ;   in Loop: Header=BB5_280 Depth=1
	s_mov_b64 s[30:31], 0
.LBB5_1311:                             ;   Parent Loop BB5_280 Depth=1
                                        ; =>  This Inner Loop Header: Depth=2
	s_sleep 1
	global_store_dwordx2 v[3:4], v[9:10], off
	v_mov_b32_e32 v7, s22
	v_mov_b32_e32 v8, s23
	s_waitcnt vmcnt(0)
	global_atomic_cmpswap_x2 v[7:8], v2, v[7:10], s[34:35] offset:32 glc
	s_waitcnt vmcnt(0)
	v_cmp_eq_u64_e32 vcc, v[7:8], v[9:10]
	v_mov_b32_e32 v10, v8
	s_or_b64 s[30:31], vcc, s[30:31]
	v_mov_b32_e32 v9, v7
	s_andn2_b64 exec, exec, s[30:31]
	s_cbranch_execnz .LBB5_1311
.LBB5_1312:                             ;   in Loop: Header=BB5_280 Depth=1
	s_or_b64 exec, exec, s[28:29]
	global_load_dwordx2 v[3:4], v2, s[34:35] offset:16
	s_mov_b64 s[30:31], exec
	v_mbcnt_lo_u32_b32 v1, s30, 0
	v_mbcnt_hi_u32_b32 v1, s31, v1
	v_cmp_eq_u32_e32 vcc, 0, v1
	s_and_saveexec_b64 s[28:29], vcc
	s_cbranch_execz .LBB5_1314
; %bb.1313:                             ;   in Loop: Header=BB5_280 Depth=1
	s_bcnt1_i32_b64 s30, s[30:31]
	v_mov_b32_e32 v1, s30
	s_waitcnt vmcnt(0)
	global_atomic_add_x2 v[3:4], v[1:2], off offset:8
.LBB5_1314:                             ;   in Loop: Header=BB5_280 Depth=1
	s_or_b64 exec, exec, s[28:29]
	s_waitcnt vmcnt(0)
	global_load_dwordx2 v[7:8], v[3:4], off offset:16
	s_waitcnt vmcnt(0)
	v_cmp_eq_u64_e32 vcc, 0, v[7:8]
	s_cbranch_vccnz .LBB5_1316
; %bb.1315:                             ;   in Loop: Header=BB5_280 Depth=1
	global_load_dword v1, v[3:4], off offset:24
	s_waitcnt vmcnt(0)
	v_readfirstlane_b32 s28, v1
	s_and_b32 m0, s28, 0xffffff
	global_store_dwordx2 v[7:8], v[1:2], off
	s_sendmsg sendmsg(MSG_INTERRUPT)
.LBB5_1316:                             ;   in Loop: Header=BB5_280 Depth=1
	s_or_b64 exec, exec, s[24:25]
	v_add_co_u32_e32 v3, vcc, v13, v44
	v_addc_co_u32_e32 v4, vcc, 0, v14, vcc
	s_branch .LBB5_1320
.LBB5_1317:                             ;   in Loop: Header=BB5_1320 Depth=2
	s_or_b64 exec, exec, s[24:25]
	v_readfirstlane_b32 s24, v1
	s_cmp_eq_u32 s24, 0
	s_cbranch_scc1 .LBB5_1319
; %bb.1318:                             ;   in Loop: Header=BB5_1320 Depth=2
	s_sleep 1
	s_cbranch_execnz .LBB5_1320
	s_branch .LBB5_1322
.LBB5_1319:                             ;   in Loop: Header=BB5_280 Depth=1
	s_branch .LBB5_1322
.LBB5_1320:                             ;   Parent Loop BB5_280 Depth=1
                                        ; =>  This Inner Loop Header: Depth=2
	v_mov_b32_e32 v1, 1
	s_and_saveexec_b64 s[24:25], s[4:5]
	s_cbranch_execz .LBB5_1317
; %bb.1321:                             ;   in Loop: Header=BB5_1320 Depth=2
	global_load_dword v1, v[11:12], off offset:20 glc
	s_waitcnt vmcnt(0)
	buffer_wbinvl1_vol
	v_and_b32_e32 v1, 1, v1
	s_branch .LBB5_1317
.LBB5_1322:                             ;   in Loop: Header=BB5_280 Depth=1
	global_load_dwordx2 v[7:8], v[3:4], off
	s_and_saveexec_b64 s[24:25], s[4:5]
	s_cbranch_execz .LBB5_1326
; %bb.1323:                             ;   in Loop: Header=BB5_280 Depth=1
	global_load_dwordx2 v[3:4], v2, s[34:35] offset:40
	global_load_dwordx2 v[13:14], v2, s[34:35] offset:24 glc
	global_load_dwordx2 v[9:10], v2, s[34:35]
	s_waitcnt vmcnt(2)
	v_readfirstlane_b32 s28, v3
	v_readfirstlane_b32 s29, v4
	s_add_u32 s30, s28, 1
	s_addc_u32 s31, s29, 0
	s_add_u32 s4, s30, s22
	s_addc_u32 s5, s31, s23
	s_cmp_eq_u64 s[4:5], 0
	s_cselect_b32 s5, s31, s5
	s_cselect_b32 s4, s30, s4
	s_and_b64 s[22:23], s[4:5], s[28:29]
	s_mul_i32 s23, s23, 24
	s_mul_hi_u32 s28, s22, 24
	s_mul_i32 s22, s22, 24
	s_add_i32 s23, s28, s23
	v_mov_b32_e32 v1, s23
	s_waitcnt vmcnt(0)
	v_add_co_u32_e32 v3, vcc, s22, v9
	v_addc_co_u32_e32 v4, vcc, v10, v1, vcc
	v_mov_b32_e32 v11, s4
	global_store_dwordx2 v[3:4], v[13:14], off
	v_mov_b32_e32 v12, s5
	s_waitcnt vmcnt(0)
	global_atomic_cmpswap_x2 v[11:12], v2, v[11:14], s[34:35] offset:24 glc
	s_waitcnt vmcnt(0)
	v_cmp_ne_u64_e32 vcc, v[11:12], v[13:14]
	s_and_b64 exec, exec, vcc
	s_cbranch_execz .LBB5_1326
; %bb.1324:                             ;   in Loop: Header=BB5_280 Depth=1
	s_mov_b64 s[22:23], 0
.LBB5_1325:                             ;   Parent Loop BB5_280 Depth=1
                                        ; =>  This Inner Loop Header: Depth=2
	s_sleep 1
	global_store_dwordx2 v[3:4], v[11:12], off
	v_mov_b32_e32 v9, s4
	v_mov_b32_e32 v10, s5
	s_waitcnt vmcnt(0)
	global_atomic_cmpswap_x2 v[9:10], v2, v[9:12], s[34:35] offset:24 glc
	s_waitcnt vmcnt(0)
	v_cmp_eq_u64_e32 vcc, v[9:10], v[11:12]
	v_mov_b32_e32 v12, v10
	s_or_b64 s[22:23], vcc, s[22:23]
	v_mov_b32_e32 v11, v9
	s_andn2_b64 exec, exec, s[22:23]
	s_cbranch_execnz .LBB5_1325
.LBB5_1326:                             ;   in Loop: Header=BB5_280 Depth=1
	s_or_b64 exec, exec, s[24:25]
	s_and_b64 vcc, exec, s[16:17]
	s_cbranch_vccz .LBB5_1412
; %bb.1327:                             ;   in Loop: Header=BB5_280 Depth=1
	s_waitcnt vmcnt(0)
	v_and_b32_e32 v32, 2, v7
	v_and_b32_e32 v9, -3, v7
	v_mov_b32_e32 v10, v8
	s_mov_b64 s[24:25], 3
	s_getpc_b64 s[22:23]
	s_add_u32 s22, s22, .str.7@rel32@lo+4
	s_addc_u32 s23, s23, .str.7@rel32@hi+12
	s_branch .LBB5_1329
.LBB5_1328:                             ;   in Loop: Header=BB5_1329 Depth=2
	s_or_b64 exec, exec, s[52:53]
	s_sub_u32 s24, s24, s28
	s_subb_u32 s25, s25, s29
	s_add_u32 s22, s22, s28
	s_addc_u32 s23, s23, s29
	s_cmp_lg_u64 s[24:25], 0
	s_cbranch_scc0 .LBB5_1411
.LBB5_1329:                             ;   Parent Loop BB5_280 Depth=1
                                        ; =>  This Loop Header: Depth=2
                                        ;       Child Loop BB5_1332 Depth 3
                                        ;       Child Loop BB5_1340 Depth 3
	;; [unrolled: 1-line block ×11, first 2 shown]
	v_cmp_lt_u64_e64 s[4:5], s[24:25], 56
	v_cmp_gt_u64_e64 s[30:31], s[24:25], 7
	s_and_b64 s[4:5], s[4:5], exec
	s_cselect_b32 s29, s25, 0
	s_cselect_b32 s28, s24, 56
	s_add_u32 s4, s22, 8
	s_addc_u32 s5, s23, 0
	s_and_b64 vcc, exec, s[30:31]
	s_cbranch_vccnz .LBB5_1333
; %bb.1330:                             ;   in Loop: Header=BB5_1329 Depth=2
	s_cmp_eq_u64 s[24:25], 0
	s_cbranch_scc1 .LBB5_1334
; %bb.1331:                             ;   in Loop: Header=BB5_1329 Depth=2
	v_mov_b32_e32 v11, 0
	s_lshl_b64 s[4:5], s[28:29], 3
	s_mov_b64 s[30:31], 0
	v_mov_b32_e32 v12, 0
	s_mov_b64 s[52:53], s[22:23]
.LBB5_1332:                             ;   Parent Loop BB5_280 Depth=1
                                        ;     Parent Loop BB5_1329 Depth=2
                                        ; =>    This Inner Loop Header: Depth=3
	global_load_ubyte v1, v2, s[52:53]
	s_waitcnt vmcnt(0)
	v_and_b32_e32 v1, 0xffff, v1
	v_lshlrev_b64 v[3:4], s30, v[1:2]
	s_add_u32 s30, s30, 8
	s_addc_u32 s31, s31, 0
	s_add_u32 s52, s52, 1
	s_addc_u32 s53, s53, 0
	v_or_b32_e32 v11, v3, v11
	s_cmp_lg_u32 s4, s30
	v_or_b32_e32 v12, v4, v12
	s_cbranch_scc1 .LBB5_1332
	s_branch .LBB5_1335
.LBB5_1333:                             ;   in Loop: Header=BB5_1329 Depth=2
	s_mov_b32 s54, 0
	s_branch .LBB5_1336
.LBB5_1334:                             ;   in Loop: Header=BB5_1329 Depth=2
	v_mov_b32_e32 v11, 0
	v_mov_b32_e32 v12, 0
.LBB5_1335:                             ;   in Loop: Header=BB5_1329 Depth=2
	s_mov_b64 s[4:5], s[22:23]
	s_mov_b32 s54, 0
	s_cbranch_execnz .LBB5_1337
.LBB5_1336:                             ;   in Loop: Header=BB5_1329 Depth=2
	global_load_dwordx2 v[11:12], v2, s[22:23]
	s_add_i32 s54, s28, -8
.LBB5_1337:                             ;   in Loop: Header=BB5_1329 Depth=2
	s_add_u32 s30, s4, 8
	s_addc_u32 s31, s5, 0
	s_cmp_gt_u32 s54, 7
	s_cbranch_scc1 .LBB5_1341
; %bb.1338:                             ;   in Loop: Header=BB5_1329 Depth=2
	s_cmp_eq_u32 s54, 0
	s_cbranch_scc1 .LBB5_1342
; %bb.1339:                             ;   in Loop: Header=BB5_1329 Depth=2
	v_mov_b32_e32 v13, 0
	s_mov_b64 s[30:31], 0
	v_mov_b32_e32 v14, 0
	s_mov_b64 s[52:53], 0
.LBB5_1340:                             ;   Parent Loop BB5_280 Depth=1
                                        ;     Parent Loop BB5_1329 Depth=2
                                        ; =>    This Inner Loop Header: Depth=3
	s_add_u32 s56, s4, s52
	s_addc_u32 s57, s5, s53
	global_load_ubyte v1, v2, s[56:57]
	s_add_u32 s52, s52, 1
	s_addc_u32 s53, s53, 0
	s_waitcnt vmcnt(0)
	v_and_b32_e32 v1, 0xffff, v1
	v_lshlrev_b64 v[3:4], s30, v[1:2]
	s_add_u32 s30, s30, 8
	s_addc_u32 s31, s31, 0
	v_or_b32_e32 v13, v3, v13
	s_cmp_lg_u32 s54, s52
	v_or_b32_e32 v14, v4, v14
	s_cbranch_scc1 .LBB5_1340
	s_branch .LBB5_1343
.LBB5_1341:                             ;   in Loop: Header=BB5_1329 Depth=2
                                        ; implicit-def: $vgpr13_vgpr14
	s_mov_b32 s55, 0
	s_branch .LBB5_1344
.LBB5_1342:                             ;   in Loop: Header=BB5_1329 Depth=2
	v_mov_b32_e32 v13, 0
	v_mov_b32_e32 v14, 0
.LBB5_1343:                             ;   in Loop: Header=BB5_1329 Depth=2
	s_mov_b64 s[30:31], s[4:5]
	s_mov_b32 s55, 0
	s_cbranch_execnz .LBB5_1345
.LBB5_1344:                             ;   in Loop: Header=BB5_1329 Depth=2
	global_load_dwordx2 v[13:14], v2, s[4:5]
	s_add_i32 s55, s54, -8
.LBB5_1345:                             ;   in Loop: Header=BB5_1329 Depth=2
	s_add_u32 s4, s30, 8
	s_addc_u32 s5, s31, 0
	s_cmp_gt_u32 s55, 7
	s_cbranch_scc1 .LBB5_1349
; %bb.1346:                             ;   in Loop: Header=BB5_1329 Depth=2
	s_cmp_eq_u32 s55, 0
	s_cbranch_scc1 .LBB5_1350
; %bb.1347:                             ;   in Loop: Header=BB5_1329 Depth=2
	v_mov_b32_e32 v15, 0
	s_mov_b64 s[4:5], 0
	v_mov_b32_e32 v16, 0
	s_mov_b64 s[52:53], 0
.LBB5_1348:                             ;   Parent Loop BB5_280 Depth=1
                                        ;     Parent Loop BB5_1329 Depth=2
                                        ; =>    This Inner Loop Header: Depth=3
	s_add_u32 s56, s30, s52
	s_addc_u32 s57, s31, s53
	global_load_ubyte v1, v2, s[56:57]
	s_add_u32 s52, s52, 1
	s_addc_u32 s53, s53, 0
	s_waitcnt vmcnt(0)
	v_and_b32_e32 v1, 0xffff, v1
	v_lshlrev_b64 v[3:4], s4, v[1:2]
	s_add_u32 s4, s4, 8
	s_addc_u32 s5, s5, 0
	v_or_b32_e32 v15, v3, v15
	s_cmp_lg_u32 s55, s52
	v_or_b32_e32 v16, v4, v16
	s_cbranch_scc1 .LBB5_1348
	s_branch .LBB5_1351
.LBB5_1349:                             ;   in Loop: Header=BB5_1329 Depth=2
	s_mov_b32 s54, 0
	s_branch .LBB5_1352
.LBB5_1350:                             ;   in Loop: Header=BB5_1329 Depth=2
	v_mov_b32_e32 v15, 0
	v_mov_b32_e32 v16, 0
.LBB5_1351:                             ;   in Loop: Header=BB5_1329 Depth=2
	s_mov_b64 s[4:5], s[30:31]
	s_mov_b32 s54, 0
	s_cbranch_execnz .LBB5_1353
.LBB5_1352:                             ;   in Loop: Header=BB5_1329 Depth=2
	global_load_dwordx2 v[15:16], v2, s[30:31]
	s_add_i32 s54, s55, -8
.LBB5_1353:                             ;   in Loop: Header=BB5_1329 Depth=2
	s_add_u32 s30, s4, 8
	s_addc_u32 s31, s5, 0
	s_cmp_gt_u32 s54, 7
	s_cbranch_scc1 .LBB5_1357
; %bb.1354:                             ;   in Loop: Header=BB5_1329 Depth=2
	s_cmp_eq_u32 s54, 0
	s_cbranch_scc1 .LBB5_1358
; %bb.1355:                             ;   in Loop: Header=BB5_1329 Depth=2
	v_mov_b32_e32 v17, 0
	s_mov_b64 s[30:31], 0
	v_mov_b32_e32 v18, 0
	s_mov_b64 s[52:53], 0
.LBB5_1356:                             ;   Parent Loop BB5_280 Depth=1
                                        ;     Parent Loop BB5_1329 Depth=2
                                        ; =>    This Inner Loop Header: Depth=3
	s_add_u32 s56, s4, s52
	s_addc_u32 s57, s5, s53
	global_load_ubyte v1, v2, s[56:57]
	s_add_u32 s52, s52, 1
	s_addc_u32 s53, s53, 0
	s_waitcnt vmcnt(0)
	v_and_b32_e32 v1, 0xffff, v1
	v_lshlrev_b64 v[3:4], s30, v[1:2]
	s_add_u32 s30, s30, 8
	s_addc_u32 s31, s31, 0
	v_or_b32_e32 v17, v3, v17
	s_cmp_lg_u32 s54, s52
	v_or_b32_e32 v18, v4, v18
	s_cbranch_scc1 .LBB5_1356
	s_branch .LBB5_1359
.LBB5_1357:                             ;   in Loop: Header=BB5_1329 Depth=2
                                        ; implicit-def: $vgpr17_vgpr18
	s_mov_b32 s55, 0
	s_branch .LBB5_1360
.LBB5_1358:                             ;   in Loop: Header=BB5_1329 Depth=2
	v_mov_b32_e32 v17, 0
	v_mov_b32_e32 v18, 0
.LBB5_1359:                             ;   in Loop: Header=BB5_1329 Depth=2
	s_mov_b64 s[30:31], s[4:5]
	s_mov_b32 s55, 0
	s_cbranch_execnz .LBB5_1361
.LBB5_1360:                             ;   in Loop: Header=BB5_1329 Depth=2
	global_load_dwordx2 v[17:18], v2, s[4:5]
	s_add_i32 s55, s54, -8
.LBB5_1361:                             ;   in Loop: Header=BB5_1329 Depth=2
	s_add_u32 s4, s30, 8
	s_addc_u32 s5, s31, 0
	s_cmp_gt_u32 s55, 7
	s_cbranch_scc1 .LBB5_1365
; %bb.1362:                             ;   in Loop: Header=BB5_1329 Depth=2
	s_cmp_eq_u32 s55, 0
	s_cbranch_scc1 .LBB5_1366
; %bb.1363:                             ;   in Loop: Header=BB5_1329 Depth=2
	v_mov_b32_e32 v19, 0
	s_mov_b64 s[4:5], 0
	v_mov_b32_e32 v20, 0
	s_mov_b64 s[52:53], 0
.LBB5_1364:                             ;   Parent Loop BB5_280 Depth=1
                                        ;     Parent Loop BB5_1329 Depth=2
                                        ; =>    This Inner Loop Header: Depth=3
	s_add_u32 s56, s30, s52
	s_addc_u32 s57, s31, s53
	global_load_ubyte v1, v2, s[56:57]
	s_add_u32 s52, s52, 1
	s_addc_u32 s53, s53, 0
	s_waitcnt vmcnt(0)
	v_and_b32_e32 v1, 0xffff, v1
	v_lshlrev_b64 v[3:4], s4, v[1:2]
	s_add_u32 s4, s4, 8
	s_addc_u32 s5, s5, 0
	v_or_b32_e32 v19, v3, v19
	s_cmp_lg_u32 s55, s52
	v_or_b32_e32 v20, v4, v20
	s_cbranch_scc1 .LBB5_1364
	s_branch .LBB5_1367
.LBB5_1365:                             ;   in Loop: Header=BB5_1329 Depth=2
	s_mov_b32 s54, 0
	s_branch .LBB5_1368
.LBB5_1366:                             ;   in Loop: Header=BB5_1329 Depth=2
	v_mov_b32_e32 v19, 0
	v_mov_b32_e32 v20, 0
.LBB5_1367:                             ;   in Loop: Header=BB5_1329 Depth=2
	s_mov_b64 s[4:5], s[30:31]
	s_mov_b32 s54, 0
	s_cbranch_execnz .LBB5_1369
.LBB5_1368:                             ;   in Loop: Header=BB5_1329 Depth=2
	global_load_dwordx2 v[19:20], v2, s[30:31]
	s_add_i32 s54, s55, -8
.LBB5_1369:                             ;   in Loop: Header=BB5_1329 Depth=2
	s_add_u32 s30, s4, 8
	s_addc_u32 s31, s5, 0
	s_cmp_gt_u32 s54, 7
	s_cbranch_scc1 .LBB5_1373
; %bb.1370:                             ;   in Loop: Header=BB5_1329 Depth=2
	s_cmp_eq_u32 s54, 0
	s_cbranch_scc1 .LBB5_1374
; %bb.1371:                             ;   in Loop: Header=BB5_1329 Depth=2
	v_mov_b32_e32 v21, 0
	s_mov_b64 s[30:31], 0
	v_mov_b32_e32 v22, 0
	s_mov_b64 s[52:53], 0
.LBB5_1372:                             ;   Parent Loop BB5_280 Depth=1
                                        ;     Parent Loop BB5_1329 Depth=2
                                        ; =>    This Inner Loop Header: Depth=3
	s_add_u32 s56, s4, s52
	s_addc_u32 s57, s5, s53
	global_load_ubyte v1, v2, s[56:57]
	s_add_u32 s52, s52, 1
	s_addc_u32 s53, s53, 0
	s_waitcnt vmcnt(0)
	v_and_b32_e32 v1, 0xffff, v1
	v_lshlrev_b64 v[3:4], s30, v[1:2]
	s_add_u32 s30, s30, 8
	s_addc_u32 s31, s31, 0
	v_or_b32_e32 v21, v3, v21
	s_cmp_lg_u32 s54, s52
	v_or_b32_e32 v22, v4, v22
	s_cbranch_scc1 .LBB5_1372
	s_branch .LBB5_1375
.LBB5_1373:                             ;   in Loop: Header=BB5_1329 Depth=2
                                        ; implicit-def: $vgpr21_vgpr22
	s_mov_b32 s55, 0
	s_branch .LBB5_1376
.LBB5_1374:                             ;   in Loop: Header=BB5_1329 Depth=2
	v_mov_b32_e32 v21, 0
	v_mov_b32_e32 v22, 0
.LBB5_1375:                             ;   in Loop: Header=BB5_1329 Depth=2
	s_mov_b64 s[30:31], s[4:5]
	s_mov_b32 s55, 0
	s_cbranch_execnz .LBB5_1377
.LBB5_1376:                             ;   in Loop: Header=BB5_1329 Depth=2
	global_load_dwordx2 v[21:22], v2, s[4:5]
	s_add_i32 s55, s54, -8
.LBB5_1377:                             ;   in Loop: Header=BB5_1329 Depth=2
	s_cmp_gt_u32 s55, 7
	s_cbranch_scc1 .LBB5_1381
; %bb.1378:                             ;   in Loop: Header=BB5_1329 Depth=2
	s_cmp_eq_u32 s55, 0
	s_cbranch_scc1 .LBB5_1382
; %bb.1379:                             ;   in Loop: Header=BB5_1329 Depth=2
	v_mov_b32_e32 v23, 0
	s_mov_b64 s[4:5], 0
	v_mov_b32_e32 v24, 0
	s_mov_b64 s[52:53], s[30:31]
.LBB5_1380:                             ;   Parent Loop BB5_280 Depth=1
                                        ;     Parent Loop BB5_1329 Depth=2
                                        ; =>    This Inner Loop Header: Depth=3
	global_load_ubyte v1, v2, s[52:53]
	s_add_i32 s55, s55, -1
	s_waitcnt vmcnt(0)
	v_and_b32_e32 v1, 0xffff, v1
	v_lshlrev_b64 v[3:4], s4, v[1:2]
	s_add_u32 s4, s4, 8
	s_addc_u32 s5, s5, 0
	s_add_u32 s52, s52, 1
	s_addc_u32 s53, s53, 0
	v_or_b32_e32 v23, v3, v23
	s_cmp_lg_u32 s55, 0
	v_or_b32_e32 v24, v4, v24
	s_cbranch_scc1 .LBB5_1380
	s_branch .LBB5_1383
.LBB5_1381:                             ;   in Loop: Header=BB5_1329 Depth=2
	s_branch .LBB5_1384
.LBB5_1382:                             ;   in Loop: Header=BB5_1329 Depth=2
	v_mov_b32_e32 v23, 0
	v_mov_b32_e32 v24, 0
.LBB5_1383:                             ;   in Loop: Header=BB5_1329 Depth=2
	s_cbranch_execnz .LBB5_1385
.LBB5_1384:                             ;   in Loop: Header=BB5_1329 Depth=2
	global_load_dwordx2 v[23:24], v2, s[30:31]
.LBB5_1385:                             ;   in Loop: Header=BB5_1329 Depth=2
	v_readfirstlane_b32 s4, v45
	v_mov_b32_e32 v3, 0
	v_mov_b32_e32 v4, 0
	v_cmp_eq_u32_e64 s[4:5], s4, v45
	s_and_saveexec_b64 s[30:31], s[4:5]
	s_cbranch_execz .LBB5_1391
; %bb.1386:                             ;   in Loop: Header=BB5_1329 Depth=2
	global_load_dwordx2 v[27:28], v2, s[34:35] offset:24 glc
	s_waitcnt vmcnt(0)
	buffer_wbinvl1_vol
	global_load_dwordx2 v[3:4], v2, s[34:35] offset:40
	global_load_dwordx2 v[25:26], v2, s[34:35]
	s_waitcnt vmcnt(1)
	v_and_b32_e32 v1, v3, v27
	v_and_b32_e32 v3, v4, v28
	v_mul_lo_u32 v3, v3, 24
	v_mul_hi_u32 v4, v1, 24
	v_mul_lo_u32 v1, v1, 24
	v_add_u32_e32 v4, v4, v3
	s_waitcnt vmcnt(0)
	v_add_co_u32_e32 v3, vcc, v25, v1
	v_addc_co_u32_e32 v4, vcc, v26, v4, vcc
	global_load_dwordx2 v[25:26], v[3:4], off glc
	s_waitcnt vmcnt(0)
	global_atomic_cmpswap_x2 v[3:4], v2, v[25:28], s[34:35] offset:24 glc
	s_waitcnt vmcnt(0)
	buffer_wbinvl1_vol
	v_cmp_ne_u64_e32 vcc, v[3:4], v[27:28]
	s_and_saveexec_b64 s[52:53], vcc
	s_cbranch_execz .LBB5_1390
; %bb.1387:                             ;   in Loop: Header=BB5_1329 Depth=2
	s_mov_b64 s[54:55], 0
.LBB5_1388:                             ;   Parent Loop BB5_280 Depth=1
                                        ;     Parent Loop BB5_1329 Depth=2
                                        ; =>    This Inner Loop Header: Depth=3
	s_sleep 1
	global_load_dwordx2 v[25:26], v2, s[34:35] offset:40
	global_load_dwordx2 v[29:30], v2, s[34:35]
	v_mov_b32_e32 v28, v4
	v_mov_b32_e32 v27, v3
	s_waitcnt vmcnt(1)
	v_and_b32_e32 v1, v25, v27
	s_waitcnt vmcnt(0)
	v_mad_u64_u32 v[3:4], s[56:57], v1, 24, v[29:30]
	v_and_b32_e32 v25, v26, v28
	v_mov_b32_e32 v1, v4
	v_mad_u64_u32 v[25:26], s[56:57], v25, 24, v[1:2]
	v_mov_b32_e32 v4, v25
	global_load_dwordx2 v[25:26], v[3:4], off glc
	s_waitcnt vmcnt(0)
	global_atomic_cmpswap_x2 v[3:4], v2, v[25:28], s[34:35] offset:24 glc
	s_waitcnt vmcnt(0)
	buffer_wbinvl1_vol
	v_cmp_eq_u64_e32 vcc, v[3:4], v[27:28]
	s_or_b64 s[54:55], vcc, s[54:55]
	s_andn2_b64 exec, exec, s[54:55]
	s_cbranch_execnz .LBB5_1388
; %bb.1389:                             ;   in Loop: Header=BB5_1329 Depth=2
	s_or_b64 exec, exec, s[54:55]
.LBB5_1390:                             ;   in Loop: Header=BB5_1329 Depth=2
	s_or_b64 exec, exec, s[52:53]
.LBB5_1391:                             ;   in Loop: Header=BB5_1329 Depth=2
	s_or_b64 exec, exec, s[30:31]
	global_load_dwordx2 v[29:30], v2, s[34:35] offset:40
	global_load_dwordx4 v[25:28], v2, s[34:35]
	v_readfirstlane_b32 s31, v4
	v_readfirstlane_b32 s30, v3
	s_mov_b64 s[52:53], exec
	s_waitcnt vmcnt(1)
	v_readfirstlane_b32 s54, v29
	v_readfirstlane_b32 s55, v30
	s_and_b64 s[54:55], s[54:55], s[30:31]
	s_mul_i32 s56, s55, 24
	s_mul_hi_u32 s57, s54, 24
	s_mul_i32 s58, s54, 24
	s_add_i32 s56, s57, s56
	v_mov_b32_e32 v1, s56
	s_waitcnt vmcnt(0)
	v_add_co_u32_e32 v29, vcc, s58, v25
	v_addc_co_u32_e32 v30, vcc, v26, v1, vcc
	s_and_saveexec_b64 s[56:57], s[4:5]
	s_cbranch_execz .LBB5_1393
; %bb.1392:                             ;   in Loop: Header=BB5_1329 Depth=2
	v_mov_b32_e32 v3, s52
	v_mov_b32_e32 v4, s53
	global_store_dwordx4 v[29:30], v[3:6], off offset:8
.LBB5_1393:                             ;   in Loop: Header=BB5_1329 Depth=2
	s_or_b64 exec, exec, s[56:57]
	s_lshl_b64 s[52:53], s[54:55], 12
	v_mov_b32_e32 v1, s53
	v_add_co_u32_e32 v27, vcc, s52, v27
	v_addc_co_u32_e32 v28, vcc, v28, v1, vcc
	v_cmp_lt_u64_e64 vcc, s[24:25], 57
	s_lshl_b32 s52, s28, 2
	v_cndmask_b32_e32 v1, 0, v32, vcc
	s_add_i32 s52, s52, 28
	v_and_b32_e32 v3, 0xffffff1f, v9
	s_and_b32 s52, s52, 0x1e0
	v_or_b32_e32 v1, v3, v1
	v_or_b32_e32 v9, s52, v1
	v_readfirstlane_b32 s52, v27
	v_readfirstlane_b32 s53, v28
	s_nop 4
	global_store_dwordx4 v44, v[9:12], s[52:53]
	global_store_dwordx4 v44, v[13:16], s[52:53] offset:16
	global_store_dwordx4 v44, v[17:20], s[52:53] offset:32
	;; [unrolled: 1-line block ×3, first 2 shown]
	s_and_saveexec_b64 s[52:53], s[4:5]
	s_cbranch_execz .LBB5_1401
; %bb.1394:                             ;   in Loop: Header=BB5_1329 Depth=2
	global_load_dwordx2 v[13:14], v2, s[34:35] offset:32 glc
	global_load_dwordx2 v[3:4], v2, s[34:35] offset:40
	v_mov_b32_e32 v11, s30
	v_mov_b32_e32 v12, s31
	s_waitcnt vmcnt(0)
	v_readfirstlane_b32 s54, v3
	v_readfirstlane_b32 s55, v4
	s_and_b64 s[54:55], s[54:55], s[30:31]
	s_mul_i32 s55, s55, 24
	s_mul_hi_u32 s56, s54, 24
	s_mul_i32 s54, s54, 24
	s_add_i32 s55, s56, s55
	v_mov_b32_e32 v1, s55
	v_add_co_u32_e32 v3, vcc, s54, v25
	v_addc_co_u32_e32 v4, vcc, v26, v1, vcc
	global_store_dwordx2 v[3:4], v[13:14], off
	s_waitcnt vmcnt(0)
	global_atomic_cmpswap_x2 v[11:12], v2, v[11:14], s[34:35] offset:32 glc
	s_waitcnt vmcnt(0)
	v_cmp_ne_u64_e32 vcc, v[11:12], v[13:14]
	s_and_saveexec_b64 s[54:55], vcc
	s_cbranch_execz .LBB5_1397
; %bb.1395:                             ;   in Loop: Header=BB5_1329 Depth=2
	s_mov_b64 s[56:57], 0
.LBB5_1396:                             ;   Parent Loop BB5_280 Depth=1
                                        ;     Parent Loop BB5_1329 Depth=2
                                        ; =>    This Inner Loop Header: Depth=3
	s_sleep 1
	global_store_dwordx2 v[3:4], v[11:12], off
	v_mov_b32_e32 v9, s30
	v_mov_b32_e32 v10, s31
	s_waitcnt vmcnt(0)
	global_atomic_cmpswap_x2 v[9:10], v2, v[9:12], s[34:35] offset:32 glc
	s_waitcnt vmcnt(0)
	v_cmp_eq_u64_e32 vcc, v[9:10], v[11:12]
	v_mov_b32_e32 v12, v10
	s_or_b64 s[56:57], vcc, s[56:57]
	v_mov_b32_e32 v11, v9
	s_andn2_b64 exec, exec, s[56:57]
	s_cbranch_execnz .LBB5_1396
.LBB5_1397:                             ;   in Loop: Header=BB5_1329 Depth=2
	s_or_b64 exec, exec, s[54:55]
	global_load_dwordx2 v[3:4], v2, s[34:35] offset:16
	s_mov_b64 s[56:57], exec
	v_mbcnt_lo_u32_b32 v1, s56, 0
	v_mbcnt_hi_u32_b32 v1, s57, v1
	v_cmp_eq_u32_e32 vcc, 0, v1
	s_and_saveexec_b64 s[54:55], vcc
	s_cbranch_execz .LBB5_1399
; %bb.1398:                             ;   in Loop: Header=BB5_1329 Depth=2
	s_bcnt1_i32_b64 s56, s[56:57]
	v_mov_b32_e32 v1, s56
	s_waitcnt vmcnt(0)
	global_atomic_add_x2 v[3:4], v[1:2], off offset:8
.LBB5_1399:                             ;   in Loop: Header=BB5_1329 Depth=2
	s_or_b64 exec, exec, s[54:55]
	s_waitcnt vmcnt(0)
	global_load_dwordx2 v[9:10], v[3:4], off offset:16
	s_waitcnt vmcnt(0)
	v_cmp_eq_u64_e32 vcc, 0, v[9:10]
	s_cbranch_vccnz .LBB5_1401
; %bb.1400:                             ;   in Loop: Header=BB5_1329 Depth=2
	global_load_dword v1, v[3:4], off offset:24
	s_waitcnt vmcnt(0)
	v_readfirstlane_b32 s54, v1
	s_and_b32 m0, s54, 0xffffff
	global_store_dwordx2 v[9:10], v[1:2], off
	s_sendmsg sendmsg(MSG_INTERRUPT)
.LBB5_1401:                             ;   in Loop: Header=BB5_1329 Depth=2
	s_or_b64 exec, exec, s[52:53]
	v_add_co_u32_e32 v3, vcc, v27, v44
	v_addc_co_u32_e32 v4, vcc, 0, v28, vcc
	s_branch .LBB5_1405
.LBB5_1402:                             ;   in Loop: Header=BB5_1405 Depth=3
	s_or_b64 exec, exec, s[52:53]
	v_readfirstlane_b32 s52, v1
	s_cmp_eq_u32 s52, 0
	s_cbranch_scc1 .LBB5_1404
; %bb.1403:                             ;   in Loop: Header=BB5_1405 Depth=3
	s_sleep 1
	s_cbranch_execnz .LBB5_1405
	s_branch .LBB5_1407
.LBB5_1404:                             ;   in Loop: Header=BB5_1329 Depth=2
	s_branch .LBB5_1407
.LBB5_1405:                             ;   Parent Loop BB5_280 Depth=1
                                        ;     Parent Loop BB5_1329 Depth=2
                                        ; =>    This Inner Loop Header: Depth=3
	v_mov_b32_e32 v1, 1
	s_and_saveexec_b64 s[52:53], s[4:5]
	s_cbranch_execz .LBB5_1402
; %bb.1406:                             ;   in Loop: Header=BB5_1405 Depth=3
	global_load_dword v1, v[29:30], off offset:20 glc
	s_waitcnt vmcnt(0)
	buffer_wbinvl1_vol
	v_and_b32_e32 v1, 1, v1
	s_branch .LBB5_1402
.LBB5_1407:                             ;   in Loop: Header=BB5_1329 Depth=2
	global_load_dwordx2 v[9:10], v[3:4], off
	s_and_saveexec_b64 s[52:53], s[4:5]
	s_cbranch_execz .LBB5_1328
; %bb.1408:                             ;   in Loop: Header=BB5_1329 Depth=2
	global_load_dwordx2 v[3:4], v2, s[34:35] offset:40
	global_load_dwordx2 v[15:16], v2, s[34:35] offset:24 glc
	global_load_dwordx2 v[11:12], v2, s[34:35]
	s_waitcnt vmcnt(2)
	v_readfirstlane_b32 s54, v3
	v_readfirstlane_b32 s55, v4
	s_add_u32 s56, s54, 1
	s_addc_u32 s57, s55, 0
	s_add_u32 s4, s56, s30
	s_addc_u32 s5, s57, s31
	s_cmp_eq_u64 s[4:5], 0
	s_cselect_b32 s5, s57, s5
	s_cselect_b32 s4, s56, s4
	s_and_b64 s[30:31], s[4:5], s[54:55]
	s_mul_i32 s31, s31, 24
	s_mul_hi_u32 s54, s30, 24
	s_mul_i32 s30, s30, 24
	s_add_i32 s31, s54, s31
	v_mov_b32_e32 v1, s31
	s_waitcnt vmcnt(0)
	v_add_co_u32_e32 v3, vcc, s30, v11
	v_addc_co_u32_e32 v4, vcc, v12, v1, vcc
	v_mov_b32_e32 v13, s4
	global_store_dwordx2 v[3:4], v[15:16], off
	v_mov_b32_e32 v14, s5
	s_waitcnt vmcnt(0)
	global_atomic_cmpswap_x2 v[13:14], v2, v[13:16], s[34:35] offset:24 glc
	s_waitcnt vmcnt(0)
	v_cmp_ne_u64_e32 vcc, v[13:14], v[15:16]
	s_and_b64 exec, exec, vcc
	s_cbranch_execz .LBB5_1328
; %bb.1409:                             ;   in Loop: Header=BB5_1329 Depth=2
	s_mov_b64 s[30:31], 0
.LBB5_1410:                             ;   Parent Loop BB5_280 Depth=1
                                        ;     Parent Loop BB5_1329 Depth=2
                                        ; =>    This Inner Loop Header: Depth=3
	s_sleep 1
	global_store_dwordx2 v[3:4], v[13:14], off
	v_mov_b32_e32 v11, s4
	v_mov_b32_e32 v12, s5
	s_waitcnt vmcnt(0)
	global_atomic_cmpswap_x2 v[11:12], v2, v[11:14], s[34:35] offset:24 glc
	s_waitcnt vmcnt(0)
	v_cmp_eq_u64_e32 vcc, v[11:12], v[13:14]
	v_mov_b32_e32 v14, v12
	s_or_b64 s[30:31], vcc, s[30:31]
	v_mov_b32_e32 v13, v11
	s_andn2_b64 exec, exec, s[30:31]
	s_cbranch_execnz .LBB5_1410
	s_branch .LBB5_1328
.LBB5_1411:                             ;   in Loop: Header=BB5_280 Depth=1
	s_branch .LBB5_1440
.LBB5_1412:                             ;   in Loop: Header=BB5_280 Depth=1
                                        ; implicit-def: $vgpr9_vgpr10
	s_cbranch_execz .LBB5_1440
; %bb.1413:                             ;   in Loop: Header=BB5_280 Depth=1
	v_readfirstlane_b32 s4, v45
	v_mov_b32_e32 v3, 0
	v_mov_b32_e32 v4, 0
	v_cmp_eq_u32_e64 s[4:5], s4, v45
	s_and_saveexec_b64 s[22:23], s[4:5]
	s_cbranch_execz .LBB5_1419
; %bb.1414:                             ;   in Loop: Header=BB5_280 Depth=1
	global_load_dwordx2 v[11:12], v2, s[34:35] offset:24 glc
	s_waitcnt vmcnt(0)
	buffer_wbinvl1_vol
	global_load_dwordx2 v[3:4], v2, s[34:35] offset:40
	global_load_dwordx2 v[9:10], v2, s[34:35]
	s_waitcnt vmcnt(1)
	v_and_b32_e32 v1, v3, v11
	v_and_b32_e32 v3, v4, v12
	v_mul_lo_u32 v3, v3, 24
	v_mul_hi_u32 v4, v1, 24
	v_mul_lo_u32 v1, v1, 24
	v_add_u32_e32 v4, v4, v3
	s_waitcnt vmcnt(0)
	v_add_co_u32_e32 v3, vcc, v9, v1
	v_addc_co_u32_e32 v4, vcc, v10, v4, vcc
	global_load_dwordx2 v[9:10], v[3:4], off glc
	s_waitcnt vmcnt(0)
	global_atomic_cmpswap_x2 v[3:4], v2, v[9:12], s[34:35] offset:24 glc
	s_waitcnt vmcnt(0)
	buffer_wbinvl1_vol
	v_cmp_ne_u64_e32 vcc, v[3:4], v[11:12]
	s_and_saveexec_b64 s[24:25], vcc
	s_cbranch_execz .LBB5_1418
; %bb.1415:                             ;   in Loop: Header=BB5_280 Depth=1
	s_mov_b64 s[28:29], 0
.LBB5_1416:                             ;   Parent Loop BB5_280 Depth=1
                                        ; =>  This Inner Loop Header: Depth=2
	s_sleep 1
	global_load_dwordx2 v[9:10], v2, s[34:35] offset:40
	global_load_dwordx2 v[13:14], v2, s[34:35]
	v_mov_b32_e32 v12, v4
	v_mov_b32_e32 v11, v3
	s_waitcnt vmcnt(1)
	v_and_b32_e32 v1, v9, v11
	s_waitcnt vmcnt(0)
	v_mad_u64_u32 v[3:4], s[30:31], v1, 24, v[13:14]
	v_and_b32_e32 v9, v10, v12
	v_mov_b32_e32 v1, v4
	v_mad_u64_u32 v[9:10], s[30:31], v9, 24, v[1:2]
	v_mov_b32_e32 v4, v9
	global_load_dwordx2 v[9:10], v[3:4], off glc
	s_waitcnt vmcnt(0)
	global_atomic_cmpswap_x2 v[3:4], v2, v[9:12], s[34:35] offset:24 glc
	s_waitcnt vmcnt(0)
	buffer_wbinvl1_vol
	v_cmp_eq_u64_e32 vcc, v[3:4], v[11:12]
	s_or_b64 s[28:29], vcc, s[28:29]
	s_andn2_b64 exec, exec, s[28:29]
	s_cbranch_execnz .LBB5_1416
; %bb.1417:                             ;   in Loop: Header=BB5_280 Depth=1
	s_or_b64 exec, exec, s[28:29]
.LBB5_1418:                             ;   in Loop: Header=BB5_280 Depth=1
	s_or_b64 exec, exec, s[24:25]
.LBB5_1419:                             ;   in Loop: Header=BB5_280 Depth=1
	s_or_b64 exec, exec, s[22:23]
	global_load_dwordx2 v[9:10], v2, s[34:35] offset:40
	global_load_dwordx4 v[11:14], v2, s[34:35]
	v_readfirstlane_b32 s23, v4
	v_readfirstlane_b32 s22, v3
	s_mov_b64 s[24:25], exec
	s_waitcnt vmcnt(1)
	v_readfirstlane_b32 s28, v9
	v_readfirstlane_b32 s29, v10
	s_and_b64 s[28:29], s[28:29], s[22:23]
	s_mul_i32 s30, s29, 24
	s_mul_hi_u32 s31, s28, 24
	s_mul_i32 s52, s28, 24
	s_add_i32 s30, s31, s30
	v_mov_b32_e32 v1, s30
	s_waitcnt vmcnt(0)
	v_add_co_u32_e32 v15, vcc, s52, v11
	v_addc_co_u32_e32 v16, vcc, v12, v1, vcc
	s_and_saveexec_b64 s[30:31], s[4:5]
	s_cbranch_execz .LBB5_1421
; %bb.1420:                             ;   in Loop: Header=BB5_280 Depth=1
	v_mov_b32_e32 v3, s24
	v_mov_b32_e32 v4, s25
	global_store_dwordx4 v[15:16], v[3:6], off offset:8
.LBB5_1421:                             ;   in Loop: Header=BB5_280 Depth=1
	s_or_b64 exec, exec, s[30:31]
	s_lshl_b64 s[24:25], s[28:29], 12
	v_mov_b32_e32 v1, s25
	v_add_co_u32_e32 v13, vcc, s24, v13
	v_addc_co_u32_e32 v14, vcc, v14, v1, vcc
	v_and_or_b32 v7, v7, s33, 32
	v_mov_b32_e32 v9, v2
	v_mov_b32_e32 v10, v2
	v_readfirstlane_b32 s24, v13
	v_readfirstlane_b32 s25, v14
	s_nop 4
	global_store_dwordx4 v44, v[7:10], s[24:25]
	s_nop 0
	v_mov_b32_e32 v7, s8
	v_mov_b32_e32 v8, s9
	;; [unrolled: 1-line block ×4, first 2 shown]
	global_store_dwordx4 v44, v[7:10], s[24:25] offset:16
	global_store_dwordx4 v44, v[7:10], s[24:25] offset:32
	;; [unrolled: 1-line block ×3, first 2 shown]
	s_and_saveexec_b64 s[24:25], s[4:5]
	s_cbranch_execz .LBB5_1429
; %bb.1422:                             ;   in Loop: Header=BB5_280 Depth=1
	global_load_dwordx2 v[19:20], v2, s[34:35] offset:32 glc
	global_load_dwordx2 v[3:4], v2, s[34:35] offset:40
	v_mov_b32_e32 v17, s22
	v_mov_b32_e32 v18, s23
	s_waitcnt vmcnt(0)
	v_readfirstlane_b32 s28, v3
	v_readfirstlane_b32 s29, v4
	s_and_b64 s[28:29], s[28:29], s[22:23]
	s_mul_i32 s29, s29, 24
	s_mul_hi_u32 s30, s28, 24
	s_mul_i32 s28, s28, 24
	s_add_i32 s29, s30, s29
	v_mov_b32_e32 v1, s29
	v_add_co_u32_e32 v3, vcc, s28, v11
	v_addc_co_u32_e32 v4, vcc, v12, v1, vcc
	global_store_dwordx2 v[3:4], v[19:20], off
	s_waitcnt vmcnt(0)
	global_atomic_cmpswap_x2 v[9:10], v2, v[17:20], s[34:35] offset:32 glc
	s_waitcnt vmcnt(0)
	v_cmp_ne_u64_e32 vcc, v[9:10], v[19:20]
	s_and_saveexec_b64 s[28:29], vcc
	s_cbranch_execz .LBB5_1425
; %bb.1423:                             ;   in Loop: Header=BB5_280 Depth=1
	s_mov_b64 s[30:31], 0
.LBB5_1424:                             ;   Parent Loop BB5_280 Depth=1
                                        ; =>  This Inner Loop Header: Depth=2
	s_sleep 1
	global_store_dwordx2 v[3:4], v[9:10], off
	v_mov_b32_e32 v7, s22
	v_mov_b32_e32 v8, s23
	s_waitcnt vmcnt(0)
	global_atomic_cmpswap_x2 v[7:8], v2, v[7:10], s[34:35] offset:32 glc
	s_waitcnt vmcnt(0)
	v_cmp_eq_u64_e32 vcc, v[7:8], v[9:10]
	v_mov_b32_e32 v10, v8
	s_or_b64 s[30:31], vcc, s[30:31]
	v_mov_b32_e32 v9, v7
	s_andn2_b64 exec, exec, s[30:31]
	s_cbranch_execnz .LBB5_1424
.LBB5_1425:                             ;   in Loop: Header=BB5_280 Depth=1
	s_or_b64 exec, exec, s[28:29]
	global_load_dwordx2 v[3:4], v2, s[34:35] offset:16
	s_mov_b64 s[30:31], exec
	v_mbcnt_lo_u32_b32 v1, s30, 0
	v_mbcnt_hi_u32_b32 v1, s31, v1
	v_cmp_eq_u32_e32 vcc, 0, v1
	s_and_saveexec_b64 s[28:29], vcc
	s_cbranch_execz .LBB5_1427
; %bb.1426:                             ;   in Loop: Header=BB5_280 Depth=1
	s_bcnt1_i32_b64 s30, s[30:31]
	v_mov_b32_e32 v1, s30
	s_waitcnt vmcnt(0)
	global_atomic_add_x2 v[3:4], v[1:2], off offset:8
.LBB5_1427:                             ;   in Loop: Header=BB5_280 Depth=1
	s_or_b64 exec, exec, s[28:29]
	s_waitcnt vmcnt(0)
	global_load_dwordx2 v[7:8], v[3:4], off offset:16
	s_waitcnt vmcnt(0)
	v_cmp_eq_u64_e32 vcc, 0, v[7:8]
	s_cbranch_vccnz .LBB5_1429
; %bb.1428:                             ;   in Loop: Header=BB5_280 Depth=1
	global_load_dword v1, v[3:4], off offset:24
	s_waitcnt vmcnt(0)
	v_readfirstlane_b32 s28, v1
	s_and_b32 m0, s28, 0xffffff
	global_store_dwordx2 v[7:8], v[1:2], off
	s_sendmsg sendmsg(MSG_INTERRUPT)
.LBB5_1429:                             ;   in Loop: Header=BB5_280 Depth=1
	s_or_b64 exec, exec, s[24:25]
	v_add_co_u32_e32 v3, vcc, v13, v44
	v_addc_co_u32_e32 v4, vcc, 0, v14, vcc
	s_branch .LBB5_1433
.LBB5_1430:                             ;   in Loop: Header=BB5_1433 Depth=2
	s_or_b64 exec, exec, s[24:25]
	v_readfirstlane_b32 s24, v1
	s_cmp_eq_u32 s24, 0
	s_cbranch_scc1 .LBB5_1432
; %bb.1431:                             ;   in Loop: Header=BB5_1433 Depth=2
	s_sleep 1
	s_cbranch_execnz .LBB5_1433
	s_branch .LBB5_1435
.LBB5_1432:                             ;   in Loop: Header=BB5_280 Depth=1
	s_branch .LBB5_1435
.LBB5_1433:                             ;   Parent Loop BB5_280 Depth=1
                                        ; =>  This Inner Loop Header: Depth=2
	v_mov_b32_e32 v1, 1
	s_and_saveexec_b64 s[24:25], s[4:5]
	s_cbranch_execz .LBB5_1430
; %bb.1434:                             ;   in Loop: Header=BB5_1433 Depth=2
	global_load_dword v1, v[15:16], off offset:20 glc
	s_waitcnt vmcnt(0)
	buffer_wbinvl1_vol
	v_and_b32_e32 v1, 1, v1
	s_branch .LBB5_1430
.LBB5_1435:                             ;   in Loop: Header=BB5_280 Depth=1
	global_load_dwordx2 v[9:10], v[3:4], off
	s_and_saveexec_b64 s[24:25], s[4:5]
	s_cbranch_execz .LBB5_1439
; %bb.1436:                             ;   in Loop: Header=BB5_280 Depth=1
	global_load_dwordx2 v[3:4], v2, s[34:35] offset:40
	global_load_dwordx2 v[15:16], v2, s[34:35] offset:24 glc
	global_load_dwordx2 v[7:8], v2, s[34:35]
	s_waitcnt vmcnt(2)
	v_readfirstlane_b32 s28, v3
	v_readfirstlane_b32 s29, v4
	s_add_u32 s30, s28, 1
	s_addc_u32 s31, s29, 0
	s_add_u32 s4, s30, s22
	s_addc_u32 s5, s31, s23
	s_cmp_eq_u64 s[4:5], 0
	s_cselect_b32 s5, s31, s5
	s_cselect_b32 s4, s30, s4
	s_and_b64 s[22:23], s[4:5], s[28:29]
	s_mul_i32 s23, s23, 24
	s_mul_hi_u32 s28, s22, 24
	s_mul_i32 s22, s22, 24
	s_add_i32 s23, s28, s23
	v_mov_b32_e32 v1, s23
	s_waitcnt vmcnt(0)
	v_add_co_u32_e32 v3, vcc, s22, v7
	v_addc_co_u32_e32 v4, vcc, v8, v1, vcc
	v_mov_b32_e32 v13, s4
	global_store_dwordx2 v[3:4], v[15:16], off
	v_mov_b32_e32 v14, s5
	s_waitcnt vmcnt(0)
	global_atomic_cmpswap_x2 v[13:14], v2, v[13:16], s[34:35] offset:24 glc
	s_waitcnt vmcnt(0)
	v_cmp_ne_u64_e32 vcc, v[13:14], v[15:16]
	s_and_b64 exec, exec, vcc
	s_cbranch_execz .LBB5_1439
; %bb.1437:                             ;   in Loop: Header=BB5_280 Depth=1
	s_mov_b64 s[22:23], 0
.LBB5_1438:                             ;   Parent Loop BB5_280 Depth=1
                                        ; =>  This Inner Loop Header: Depth=2
	s_sleep 1
	global_store_dwordx2 v[3:4], v[13:14], off
	v_mov_b32_e32 v11, s4
	v_mov_b32_e32 v12, s5
	s_waitcnt vmcnt(0)
	global_atomic_cmpswap_x2 v[7:8], v2, v[11:14], s[34:35] offset:24 glc
	s_waitcnt vmcnt(0)
	v_cmp_eq_u64_e32 vcc, v[7:8], v[13:14]
	v_mov_b32_e32 v14, v8
	s_or_b64 s[22:23], vcc, s[22:23]
	v_mov_b32_e32 v13, v7
	s_andn2_b64 exec, exec, s[22:23]
	s_cbranch_execnz .LBB5_1438
.LBB5_1439:                             ;   in Loop: Header=BB5_280 Depth=1
	s_or_b64 exec, exec, s[24:25]
.LBB5_1440:                             ;   in Loop: Header=BB5_280 Depth=1
	v_readfirstlane_b32 s4, v45
	v_mov_b32_e32 v3, 0
	v_mov_b32_e32 v4, 0
	v_cmp_eq_u32_e64 s[4:5], s4, v45
	s_and_saveexec_b64 s[22:23], s[4:5]
	s_cbranch_execz .LBB5_1446
; %bb.1441:                             ;   in Loop: Header=BB5_280 Depth=1
	global_load_dwordx2 v[13:14], v2, s[34:35] offset:24 glc
	s_waitcnt vmcnt(0)
	buffer_wbinvl1_vol
	global_load_dwordx2 v[3:4], v2, s[34:35] offset:40
	global_load_dwordx2 v[7:8], v2, s[34:35]
	s_waitcnt vmcnt(1)
	v_and_b32_e32 v1, v3, v13
	v_and_b32_e32 v3, v4, v14
	v_mul_lo_u32 v3, v3, 24
	v_mul_hi_u32 v4, v1, 24
	v_mul_lo_u32 v1, v1, 24
	v_add_u32_e32 v4, v4, v3
	s_waitcnt vmcnt(0)
	v_add_co_u32_e32 v3, vcc, v7, v1
	v_addc_co_u32_e32 v4, vcc, v8, v4, vcc
	global_load_dwordx2 v[11:12], v[3:4], off glc
	s_waitcnt vmcnt(0)
	global_atomic_cmpswap_x2 v[3:4], v2, v[11:14], s[34:35] offset:24 glc
	s_waitcnt vmcnt(0)
	buffer_wbinvl1_vol
	v_cmp_ne_u64_e32 vcc, v[3:4], v[13:14]
	s_and_saveexec_b64 s[24:25], vcc
	s_cbranch_execz .LBB5_1445
; %bb.1442:                             ;   in Loop: Header=BB5_280 Depth=1
	s_mov_b64 s[28:29], 0
.LBB5_1443:                             ;   Parent Loop BB5_280 Depth=1
                                        ; =>  This Inner Loop Header: Depth=2
	s_sleep 1
	global_load_dwordx2 v[7:8], v2, s[34:35] offset:40
	global_load_dwordx2 v[11:12], v2, s[34:35]
	v_mov_b32_e32 v14, v4
	v_mov_b32_e32 v13, v3
	s_waitcnt vmcnt(1)
	v_and_b32_e32 v1, v7, v13
	s_waitcnt vmcnt(0)
	v_mad_u64_u32 v[3:4], s[30:31], v1, 24, v[11:12]
	v_and_b32_e32 v7, v8, v14
	v_mov_b32_e32 v1, v4
	v_mad_u64_u32 v[7:8], s[30:31], v7, 24, v[1:2]
	v_mov_b32_e32 v4, v7
	global_load_dwordx2 v[11:12], v[3:4], off glc
	s_waitcnt vmcnt(0)
	global_atomic_cmpswap_x2 v[3:4], v2, v[11:14], s[34:35] offset:24 glc
	s_waitcnt vmcnt(0)
	buffer_wbinvl1_vol
	v_cmp_eq_u64_e32 vcc, v[3:4], v[13:14]
	s_or_b64 s[28:29], vcc, s[28:29]
	s_andn2_b64 exec, exec, s[28:29]
	s_cbranch_execnz .LBB5_1443
; %bb.1444:                             ;   in Loop: Header=BB5_280 Depth=1
	s_or_b64 exec, exec, s[28:29]
.LBB5_1445:                             ;   in Loop: Header=BB5_280 Depth=1
	s_or_b64 exec, exec, s[24:25]
.LBB5_1446:                             ;   in Loop: Header=BB5_280 Depth=1
	s_or_b64 exec, exec, s[22:23]
	global_load_dwordx2 v[7:8], v2, s[34:35] offset:40
	global_load_dwordx4 v[13:16], v2, s[34:35]
	v_readfirstlane_b32 s23, v4
	v_readfirstlane_b32 s22, v3
	s_mov_b64 s[24:25], exec
	s_waitcnt vmcnt(1)
	v_readfirstlane_b32 s28, v7
	v_readfirstlane_b32 s29, v8
	s_and_b64 s[28:29], s[28:29], s[22:23]
	s_mul_i32 s30, s29, 24
	s_mul_hi_u32 s31, s28, 24
	s_mul_i32 s52, s28, 24
	s_add_i32 s30, s31, s30
	v_mov_b32_e32 v1, s30
	s_waitcnt vmcnt(0)
	v_add_co_u32_e32 v17, vcc, s52, v13
	v_addc_co_u32_e32 v18, vcc, v14, v1, vcc
	s_and_saveexec_b64 s[30:31], s[4:5]
	s_cbranch_execz .LBB5_1448
; %bb.1447:                             ;   in Loop: Header=BB5_280 Depth=1
	v_mov_b32_e32 v3, s24
	v_mov_b32_e32 v4, s25
	global_store_dwordx4 v[17:18], v[3:6], off offset:8
.LBB5_1448:                             ;   in Loop: Header=BB5_280 Depth=1
	s_or_b64 exec, exec, s[30:31]
	s_lshl_b64 s[24:25], s[28:29], 12
	v_mov_b32_e32 v1, s25
	v_add_co_u32_e32 v3, vcc, s24, v15
	v_addc_co_u32_e32 v1, vcc, v16, v1, vcc
	v_and_or_b32 v9, v9, s60, 34
	v_mov_b32_e32 v11, v31
	v_mov_b32_e32 v12, v2
	v_readfirstlane_b32 s24, v3
	v_readfirstlane_b32 s25, v1
	s_nop 4
	global_store_dwordx4 v44, v[9:12], s[24:25]
	v_mov_b32_e32 v7, s8
	v_mov_b32_e32 v8, s9
	;; [unrolled: 1-line block ×4, first 2 shown]
	global_store_dwordx4 v44, v[7:10], s[24:25] offset:16
	global_store_dwordx4 v44, v[7:10], s[24:25] offset:32
	;; [unrolled: 1-line block ×3, first 2 shown]
	s_and_saveexec_b64 s[24:25], s[4:5]
	s_cbranch_execz .LBB5_1456
; %bb.1449:                             ;   in Loop: Header=BB5_280 Depth=1
	global_load_dwordx2 v[11:12], v2, s[34:35] offset:32 glc
	global_load_dwordx2 v[3:4], v2, s[34:35] offset:40
	v_mov_b32_e32 v9, s22
	v_mov_b32_e32 v10, s23
	s_waitcnt vmcnt(0)
	v_readfirstlane_b32 s28, v3
	v_readfirstlane_b32 s29, v4
	s_and_b64 s[28:29], s[28:29], s[22:23]
	s_mul_i32 s29, s29, 24
	s_mul_hi_u32 s30, s28, 24
	s_mul_i32 s28, s28, 24
	s_add_i32 s29, s30, s29
	v_mov_b32_e32 v1, s29
	v_add_co_u32_e32 v3, vcc, s28, v13
	v_addc_co_u32_e32 v4, vcc, v14, v1, vcc
	global_store_dwordx2 v[3:4], v[11:12], off
	s_waitcnt vmcnt(0)
	global_atomic_cmpswap_x2 v[9:10], v2, v[9:12], s[34:35] offset:32 glc
	s_waitcnt vmcnt(0)
	v_cmp_ne_u64_e32 vcc, v[9:10], v[11:12]
	s_and_saveexec_b64 s[28:29], vcc
	s_cbranch_execz .LBB5_1452
; %bb.1450:                             ;   in Loop: Header=BB5_280 Depth=1
	s_mov_b64 s[30:31], 0
.LBB5_1451:                             ;   Parent Loop BB5_280 Depth=1
                                        ; =>  This Inner Loop Header: Depth=2
	s_sleep 1
	global_store_dwordx2 v[3:4], v[9:10], off
	v_mov_b32_e32 v7, s22
	v_mov_b32_e32 v8, s23
	s_waitcnt vmcnt(0)
	global_atomic_cmpswap_x2 v[7:8], v2, v[7:10], s[34:35] offset:32 glc
	s_waitcnt vmcnt(0)
	v_cmp_eq_u64_e32 vcc, v[7:8], v[9:10]
	v_mov_b32_e32 v10, v8
	s_or_b64 s[30:31], vcc, s[30:31]
	v_mov_b32_e32 v9, v7
	s_andn2_b64 exec, exec, s[30:31]
	s_cbranch_execnz .LBB5_1451
.LBB5_1452:                             ;   in Loop: Header=BB5_280 Depth=1
	s_or_b64 exec, exec, s[28:29]
	global_load_dwordx2 v[3:4], v2, s[34:35] offset:16
	s_mov_b64 s[30:31], exec
	v_mbcnt_lo_u32_b32 v1, s30, 0
	v_mbcnt_hi_u32_b32 v1, s31, v1
	v_cmp_eq_u32_e32 vcc, 0, v1
	s_and_saveexec_b64 s[28:29], vcc
	s_cbranch_execz .LBB5_1454
; %bb.1453:                             ;   in Loop: Header=BB5_280 Depth=1
	s_bcnt1_i32_b64 s30, s[30:31]
	v_mov_b32_e32 v1, s30
	s_waitcnt vmcnt(0)
	global_atomic_add_x2 v[3:4], v[1:2], off offset:8
.LBB5_1454:                             ;   in Loop: Header=BB5_280 Depth=1
	s_or_b64 exec, exec, s[28:29]
	s_waitcnt vmcnt(0)
	global_load_dwordx2 v[7:8], v[3:4], off offset:16
	s_waitcnt vmcnt(0)
	v_cmp_eq_u64_e32 vcc, 0, v[7:8]
	s_cbranch_vccnz .LBB5_1456
; %bb.1455:                             ;   in Loop: Header=BB5_280 Depth=1
	global_load_dword v1, v[3:4], off offset:24
	s_waitcnt vmcnt(0)
	v_readfirstlane_b32 s28, v1
	s_and_b32 m0, s28, 0xffffff
	global_store_dwordx2 v[7:8], v[1:2], off
	s_sendmsg sendmsg(MSG_INTERRUPT)
.LBB5_1456:                             ;   in Loop: Header=BB5_280 Depth=1
	s_or_b64 exec, exec, s[24:25]
	s_branch .LBB5_1460
.LBB5_1457:                             ;   in Loop: Header=BB5_1460 Depth=2
	s_or_b64 exec, exec, s[24:25]
	v_readfirstlane_b32 s24, v1
	s_cmp_eq_u32 s24, 0
	s_cbranch_scc1 .LBB5_1459
; %bb.1458:                             ;   in Loop: Header=BB5_1460 Depth=2
	s_sleep 1
	s_cbranch_execnz .LBB5_1460
	s_branch .LBB5_1462
.LBB5_1459:                             ;   in Loop: Header=BB5_280 Depth=1
	s_branch .LBB5_1462
.LBB5_1460:                             ;   Parent Loop BB5_280 Depth=1
                                        ; =>  This Inner Loop Header: Depth=2
	v_mov_b32_e32 v1, 1
	s_and_saveexec_b64 s[24:25], s[4:5]
	s_cbranch_execz .LBB5_1457
; %bb.1461:                             ;   in Loop: Header=BB5_1460 Depth=2
	global_load_dword v1, v[17:18], off offset:20 glc
	s_waitcnt vmcnt(0)
	buffer_wbinvl1_vol
	v_and_b32_e32 v1, 1, v1
	s_branch .LBB5_1457
.LBB5_1462:                             ;   in Loop: Header=BB5_280 Depth=1
	s_and_saveexec_b64 s[24:25], s[4:5]
	s_cbranch_execz .LBB5_1466
; %bb.1463:                             ;   in Loop: Header=BB5_280 Depth=1
	global_load_dwordx2 v[3:4], v2, s[34:35] offset:40
	global_load_dwordx2 v[11:12], v2, s[34:35] offset:24 glc
	global_load_dwordx2 v[7:8], v2, s[34:35]
	s_waitcnt vmcnt(2)
	v_readfirstlane_b32 s28, v3
	v_readfirstlane_b32 s29, v4
	s_add_u32 s30, s28, 1
	s_addc_u32 s31, s29, 0
	s_add_u32 s4, s30, s22
	s_addc_u32 s5, s31, s23
	s_cmp_eq_u64 s[4:5], 0
	s_cselect_b32 s5, s31, s5
	s_cselect_b32 s4, s30, s4
	s_and_b64 s[22:23], s[4:5], s[28:29]
	s_mul_i32 s23, s23, 24
	s_mul_hi_u32 s28, s22, 24
	s_mul_i32 s22, s22, 24
	s_add_i32 s23, s28, s23
	v_mov_b32_e32 v1, s23
	s_waitcnt vmcnt(0)
	v_add_co_u32_e32 v3, vcc, s22, v7
	v_addc_co_u32_e32 v4, vcc, v8, v1, vcc
	v_mov_b32_e32 v9, s4
	global_store_dwordx2 v[3:4], v[11:12], off
	v_mov_b32_e32 v10, s5
	s_waitcnt vmcnt(0)
	global_atomic_cmpswap_x2 v[9:10], v2, v[9:12], s[34:35] offset:24 glc
	s_waitcnt vmcnt(0)
	v_cmp_ne_u64_e32 vcc, v[9:10], v[11:12]
	s_and_b64 exec, exec, vcc
	s_cbranch_execz .LBB5_1466
; %bb.1464:                             ;   in Loop: Header=BB5_280 Depth=1
	s_mov_b64 s[22:23], 0
.LBB5_1465:                             ;   Parent Loop BB5_280 Depth=1
                                        ; =>  This Inner Loop Header: Depth=2
	s_sleep 1
	global_store_dwordx2 v[3:4], v[9:10], off
	v_mov_b32_e32 v7, s4
	v_mov_b32_e32 v8, s5
	s_waitcnt vmcnt(0)
	global_atomic_cmpswap_x2 v[7:8], v2, v[7:10], s[34:35] offset:24 glc
	s_waitcnt vmcnt(0)
	v_cmp_eq_u64_e32 vcc, v[7:8], v[9:10]
	v_mov_b32_e32 v10, v8
	s_or_b64 s[22:23], vcc, s[22:23]
	v_mov_b32_e32 v9, v7
	s_andn2_b64 exec, exec, s[22:23]
	s_cbranch_execnz .LBB5_1465
.LBB5_1466:                             ;   in Loop: Header=BB5_280 Depth=1
	s_or_b64 exec, exec, s[24:25]
	v_readfirstlane_b32 s4, v45
	v_mov_b32_e32 v3, 0
	v_mov_b32_e32 v4, 0
	v_cmp_eq_u32_e64 s[4:5], s4, v45
	s_and_saveexec_b64 s[22:23], s[4:5]
	s_cbranch_execz .LBB5_1472
; %bb.1467:                             ;   in Loop: Header=BB5_280 Depth=1
	global_load_dwordx2 v[9:10], v2, s[34:35] offset:24 glc
	s_waitcnt vmcnt(0)
	buffer_wbinvl1_vol
	global_load_dwordx2 v[3:4], v2, s[34:35] offset:40
	global_load_dwordx2 v[7:8], v2, s[34:35]
	s_waitcnt vmcnt(1)
	v_and_b32_e32 v1, v3, v9
	v_and_b32_e32 v3, v4, v10
	v_mul_lo_u32 v3, v3, 24
	v_mul_hi_u32 v4, v1, 24
	v_mul_lo_u32 v1, v1, 24
	v_add_u32_e32 v4, v4, v3
	s_waitcnt vmcnt(0)
	v_add_co_u32_e32 v3, vcc, v7, v1
	v_addc_co_u32_e32 v4, vcc, v8, v4, vcc
	global_load_dwordx2 v[7:8], v[3:4], off glc
	s_waitcnt vmcnt(0)
	global_atomic_cmpswap_x2 v[3:4], v2, v[7:10], s[34:35] offset:24 glc
	s_waitcnt vmcnt(0)
	buffer_wbinvl1_vol
	v_cmp_ne_u64_e32 vcc, v[3:4], v[9:10]
	s_and_saveexec_b64 s[24:25], vcc
	s_cbranch_execz .LBB5_1471
; %bb.1468:                             ;   in Loop: Header=BB5_280 Depth=1
	s_mov_b64 s[28:29], 0
.LBB5_1469:                             ;   Parent Loop BB5_280 Depth=1
                                        ; =>  This Inner Loop Header: Depth=2
	s_sleep 1
	global_load_dwordx2 v[7:8], v2, s[34:35] offset:40
	global_load_dwordx2 v[11:12], v2, s[34:35]
	v_mov_b32_e32 v10, v4
	v_mov_b32_e32 v9, v3
	s_waitcnt vmcnt(1)
	v_and_b32_e32 v1, v7, v9
	s_waitcnt vmcnt(0)
	v_mad_u64_u32 v[3:4], s[30:31], v1, 24, v[11:12]
	v_and_b32_e32 v7, v8, v10
	v_mov_b32_e32 v1, v4
	v_mad_u64_u32 v[7:8], s[30:31], v7, 24, v[1:2]
	v_mov_b32_e32 v4, v7
	global_load_dwordx2 v[7:8], v[3:4], off glc
	s_waitcnt vmcnt(0)
	global_atomic_cmpswap_x2 v[3:4], v2, v[7:10], s[34:35] offset:24 glc
	s_waitcnt vmcnt(0)
	buffer_wbinvl1_vol
	v_cmp_eq_u64_e32 vcc, v[3:4], v[9:10]
	s_or_b64 s[28:29], vcc, s[28:29]
	s_andn2_b64 exec, exec, s[28:29]
	s_cbranch_execnz .LBB5_1469
; %bb.1470:                             ;   in Loop: Header=BB5_280 Depth=1
	s_or_b64 exec, exec, s[28:29]
.LBB5_1471:                             ;   in Loop: Header=BB5_280 Depth=1
	s_or_b64 exec, exec, s[24:25]
.LBB5_1472:                             ;   in Loop: Header=BB5_280 Depth=1
	s_or_b64 exec, exec, s[22:23]
	global_load_dwordx2 v[11:12], v2, s[34:35] offset:40
	global_load_dwordx4 v[7:10], v2, s[34:35]
	v_readfirstlane_b32 s23, v4
	v_readfirstlane_b32 s22, v3
	s_mov_b64 s[24:25], exec
	s_waitcnt vmcnt(1)
	v_readfirstlane_b32 s28, v11
	v_readfirstlane_b32 s29, v12
	s_and_b64 s[28:29], s[28:29], s[22:23]
	s_mul_i32 s30, s29, 24
	s_mul_hi_u32 s31, s28, 24
	s_mul_i32 s52, s28, 24
	s_add_i32 s30, s31, s30
	v_mov_b32_e32 v1, s30
	s_waitcnt vmcnt(0)
	v_add_co_u32_e32 v11, vcc, s52, v7
	v_addc_co_u32_e32 v12, vcc, v8, v1, vcc
	s_and_saveexec_b64 s[30:31], s[4:5]
	s_cbranch_execz .LBB5_1474
; %bb.1473:                             ;   in Loop: Header=BB5_280 Depth=1
	v_mov_b32_e32 v3, s24
	v_mov_b32_e32 v4, s25
	global_store_dwordx4 v[11:12], v[3:6], off offset:8
.LBB5_1474:                             ;   in Loop: Header=BB5_280 Depth=1
	s_or_b64 exec, exec, s[30:31]
	s_lshl_b64 s[24:25], s[28:29], 12
	v_mov_b32_e32 v1, s25
	v_add_co_u32_e32 v13, vcc, s24, v9
	v_addc_co_u32_e32 v14, vcc, v10, v1, vcc
	v_mov_b32_e32 v18, s11
	v_mov_b32_e32 v1, v2
	;; [unrolled: 1-line block ×3, first 2 shown]
	v_readfirstlane_b32 s24, v13
	v_readfirstlane_b32 s25, v14
	v_mov_b32_e32 v17, s10
	v_mov_b32_e32 v16, s9
	;; [unrolled: 1-line block ×3, first 2 shown]
	s_nop 1
	global_store_dwordx4 v44, v[0:3], s[24:25]
	global_store_dwordx4 v44, v[15:18], s[24:25] offset:16
	global_store_dwordx4 v44, v[15:18], s[24:25] offset:32
	;; [unrolled: 1-line block ×3, first 2 shown]
	s_and_saveexec_b64 s[24:25], s[4:5]
	s_cbranch_execz .LBB5_1482
; %bb.1475:                             ;   in Loop: Header=BB5_280 Depth=1
	global_load_dwordx2 v[17:18], v2, s[34:35] offset:32 glc
	global_load_dwordx2 v[3:4], v2, s[34:35] offset:40
	v_mov_b32_e32 v15, s22
	v_mov_b32_e32 v16, s23
	s_waitcnt vmcnt(0)
	v_readfirstlane_b32 s28, v3
	v_readfirstlane_b32 s29, v4
	s_and_b64 s[28:29], s[28:29], s[22:23]
	s_mul_i32 s29, s29, 24
	s_mul_hi_u32 s30, s28, 24
	s_mul_i32 s28, s28, 24
	s_add_i32 s29, s30, s29
	v_mov_b32_e32 v1, s29
	v_add_co_u32_e32 v3, vcc, s28, v7
	v_addc_co_u32_e32 v4, vcc, v8, v1, vcc
	global_store_dwordx2 v[3:4], v[17:18], off
	s_waitcnt vmcnt(0)
	global_atomic_cmpswap_x2 v[9:10], v2, v[15:18], s[34:35] offset:32 glc
	s_waitcnt vmcnt(0)
	v_cmp_ne_u64_e32 vcc, v[9:10], v[17:18]
	s_and_saveexec_b64 s[28:29], vcc
	s_cbranch_execz .LBB5_1478
; %bb.1476:                             ;   in Loop: Header=BB5_280 Depth=1
	s_mov_b64 s[30:31], 0
.LBB5_1477:                             ;   Parent Loop BB5_280 Depth=1
                                        ; =>  This Inner Loop Header: Depth=2
	s_sleep 1
	global_store_dwordx2 v[3:4], v[9:10], off
	v_mov_b32_e32 v7, s22
	v_mov_b32_e32 v8, s23
	s_waitcnt vmcnt(0)
	global_atomic_cmpswap_x2 v[7:8], v2, v[7:10], s[34:35] offset:32 glc
	s_waitcnt vmcnt(0)
	v_cmp_eq_u64_e32 vcc, v[7:8], v[9:10]
	v_mov_b32_e32 v10, v8
	s_or_b64 s[30:31], vcc, s[30:31]
	v_mov_b32_e32 v9, v7
	s_andn2_b64 exec, exec, s[30:31]
	s_cbranch_execnz .LBB5_1477
.LBB5_1478:                             ;   in Loop: Header=BB5_280 Depth=1
	s_or_b64 exec, exec, s[28:29]
	global_load_dwordx2 v[3:4], v2, s[34:35] offset:16
	s_mov_b64 s[30:31], exec
	v_mbcnt_lo_u32_b32 v1, s30, 0
	v_mbcnt_hi_u32_b32 v1, s31, v1
	v_cmp_eq_u32_e32 vcc, 0, v1
	s_and_saveexec_b64 s[28:29], vcc
	s_cbranch_execz .LBB5_1480
; %bb.1479:                             ;   in Loop: Header=BB5_280 Depth=1
	s_bcnt1_i32_b64 s30, s[30:31]
	v_mov_b32_e32 v1, s30
	s_waitcnt vmcnt(0)
	global_atomic_add_x2 v[3:4], v[1:2], off offset:8
.LBB5_1480:                             ;   in Loop: Header=BB5_280 Depth=1
	s_or_b64 exec, exec, s[28:29]
	s_waitcnt vmcnt(0)
	global_load_dwordx2 v[7:8], v[3:4], off offset:16
	s_waitcnt vmcnt(0)
	v_cmp_eq_u64_e32 vcc, 0, v[7:8]
	s_cbranch_vccnz .LBB5_1482
; %bb.1481:                             ;   in Loop: Header=BB5_280 Depth=1
	global_load_dword v1, v[3:4], off offset:24
	s_waitcnt vmcnt(0)
	v_readfirstlane_b32 s28, v1
	s_and_b32 m0, s28, 0xffffff
	global_store_dwordx2 v[7:8], v[1:2], off
	s_sendmsg sendmsg(MSG_INTERRUPT)
.LBB5_1482:                             ;   in Loop: Header=BB5_280 Depth=1
	s_or_b64 exec, exec, s[24:25]
	v_add_co_u32_e32 v3, vcc, v13, v44
	v_addc_co_u32_e32 v4, vcc, 0, v14, vcc
	s_branch .LBB5_1486
.LBB5_1483:                             ;   in Loop: Header=BB5_1486 Depth=2
	s_or_b64 exec, exec, s[24:25]
	v_readfirstlane_b32 s24, v1
	s_cmp_eq_u32 s24, 0
	s_cbranch_scc1 .LBB5_1485
; %bb.1484:                             ;   in Loop: Header=BB5_1486 Depth=2
	s_sleep 1
	s_cbranch_execnz .LBB5_1486
	s_branch .LBB5_1488
.LBB5_1485:                             ;   in Loop: Header=BB5_280 Depth=1
	s_branch .LBB5_1488
.LBB5_1486:                             ;   Parent Loop BB5_280 Depth=1
                                        ; =>  This Inner Loop Header: Depth=2
	v_mov_b32_e32 v1, 1
	s_and_saveexec_b64 s[24:25], s[4:5]
	s_cbranch_execz .LBB5_1483
; %bb.1487:                             ;   in Loop: Header=BB5_1486 Depth=2
	global_load_dword v1, v[11:12], off offset:20 glc
	s_waitcnt vmcnt(0)
	buffer_wbinvl1_vol
	v_and_b32_e32 v1, 1, v1
	s_branch .LBB5_1483
.LBB5_1488:                             ;   in Loop: Header=BB5_280 Depth=1
	global_load_dwordx2 v[7:8], v[3:4], off
	s_and_saveexec_b64 s[24:25], s[4:5]
	s_cbranch_execz .LBB5_1492
; %bb.1489:                             ;   in Loop: Header=BB5_280 Depth=1
	global_load_dwordx2 v[3:4], v2, s[34:35] offset:40
	global_load_dwordx2 v[13:14], v2, s[34:35] offset:24 glc
	global_load_dwordx2 v[9:10], v2, s[34:35]
	s_waitcnt vmcnt(2)
	v_readfirstlane_b32 s28, v3
	v_readfirstlane_b32 s29, v4
	s_add_u32 s30, s28, 1
	s_addc_u32 s31, s29, 0
	s_add_u32 s4, s30, s22
	s_addc_u32 s5, s31, s23
	s_cmp_eq_u64 s[4:5], 0
	s_cselect_b32 s5, s31, s5
	s_cselect_b32 s4, s30, s4
	s_and_b64 s[22:23], s[4:5], s[28:29]
	s_mul_i32 s23, s23, 24
	s_mul_hi_u32 s28, s22, 24
	s_mul_i32 s22, s22, 24
	s_add_i32 s23, s28, s23
	v_mov_b32_e32 v1, s23
	s_waitcnt vmcnt(0)
	v_add_co_u32_e32 v3, vcc, s22, v9
	v_addc_co_u32_e32 v4, vcc, v10, v1, vcc
	v_mov_b32_e32 v11, s4
	global_store_dwordx2 v[3:4], v[13:14], off
	v_mov_b32_e32 v12, s5
	s_waitcnt vmcnt(0)
	global_atomic_cmpswap_x2 v[11:12], v2, v[11:14], s[34:35] offset:24 glc
	s_waitcnt vmcnt(0)
	v_cmp_ne_u64_e32 vcc, v[11:12], v[13:14]
	s_and_b64 exec, exec, vcc
	s_cbranch_execz .LBB5_1492
; %bb.1490:                             ;   in Loop: Header=BB5_280 Depth=1
	s_mov_b64 s[22:23], 0
.LBB5_1491:                             ;   Parent Loop BB5_280 Depth=1
                                        ; =>  This Inner Loop Header: Depth=2
	s_sleep 1
	global_store_dwordx2 v[3:4], v[11:12], off
	v_mov_b32_e32 v9, s4
	v_mov_b32_e32 v10, s5
	s_waitcnt vmcnt(0)
	global_atomic_cmpswap_x2 v[9:10], v2, v[9:12], s[34:35] offset:24 glc
	s_waitcnt vmcnt(0)
	v_cmp_eq_u64_e32 vcc, v[9:10], v[11:12]
	v_mov_b32_e32 v12, v10
	s_or_b64 s[22:23], vcc, s[22:23]
	v_mov_b32_e32 v11, v9
	s_andn2_b64 exec, exec, s[22:23]
	s_cbranch_execnz .LBB5_1491
.LBB5_1492:                             ;   in Loop: Header=BB5_280 Depth=1
	s_or_b64 exec, exec, s[24:25]
	s_and_b64 vcc, exec, s[20:21]
	s_cbranch_vccz .LBB5_1578
; %bb.1493:                             ;   in Loop: Header=BB5_280 Depth=1
	s_waitcnt vmcnt(0)
	v_and_b32_e32 v9, -3, v7
	v_mov_b32_e32 v10, v8
	s_mov_b64 s[24:25], 2
	s_getpc_b64 s[22:23]
	s_add_u32 s22, s22, .str.8@rel32@lo+4
	s_addc_u32 s23, s23, .str.8@rel32@hi+12
	s_branch .LBB5_1495
.LBB5_1494:                             ;   in Loop: Header=BB5_1495 Depth=2
	s_or_b64 exec, exec, s[52:53]
	s_sub_u32 s24, s24, s28
	s_subb_u32 s25, s25, s29
	s_add_u32 s22, s22, s28
	s_addc_u32 s23, s23, s29
	s_cmp_lg_u64 s[24:25], 0
	s_cbranch_scc0 .LBB5_1577
.LBB5_1495:                             ;   Parent Loop BB5_280 Depth=1
                                        ; =>  This Loop Header: Depth=2
                                        ;       Child Loop BB5_1498 Depth 3
                                        ;       Child Loop BB5_1506 Depth 3
	;; [unrolled: 1-line block ×11, first 2 shown]
	v_cmp_lt_u64_e64 s[4:5], s[24:25], 56
	v_cmp_gt_u64_e64 s[30:31], s[24:25], 7
	s_and_b64 s[4:5], s[4:5], exec
	s_cselect_b32 s29, s25, 0
	s_cselect_b32 s28, s24, 56
	s_add_u32 s4, s22, 8
	s_addc_u32 s5, s23, 0
	s_and_b64 vcc, exec, s[30:31]
	s_cbranch_vccnz .LBB5_1499
; %bb.1496:                             ;   in Loop: Header=BB5_1495 Depth=2
	s_cmp_eq_u64 s[24:25], 0
	s_cbranch_scc1 .LBB5_1500
; %bb.1497:                             ;   in Loop: Header=BB5_1495 Depth=2
	s_waitcnt vmcnt(0)
	v_mov_b32_e32 v11, 0
	s_lshl_b64 s[4:5], s[28:29], 3
	s_mov_b64 s[30:31], 0
	v_mov_b32_e32 v12, 0
	s_mov_b64 s[52:53], s[22:23]
.LBB5_1498:                             ;   Parent Loop BB5_280 Depth=1
                                        ;     Parent Loop BB5_1495 Depth=2
                                        ; =>    This Inner Loop Header: Depth=3
	global_load_ubyte v1, v2, s[52:53]
	s_waitcnt vmcnt(0)
	v_and_b32_e32 v1, 0xffff, v1
	v_lshlrev_b64 v[3:4], s30, v[1:2]
	s_add_u32 s30, s30, 8
	s_addc_u32 s31, s31, 0
	s_add_u32 s52, s52, 1
	s_addc_u32 s53, s53, 0
	v_or_b32_e32 v11, v3, v11
	s_cmp_lg_u32 s4, s30
	v_or_b32_e32 v12, v4, v12
	s_cbranch_scc1 .LBB5_1498
	s_branch .LBB5_1501
.LBB5_1499:                             ;   in Loop: Header=BB5_1495 Depth=2
	s_mov_b32 s54, 0
	s_branch .LBB5_1502
.LBB5_1500:                             ;   in Loop: Header=BB5_1495 Depth=2
	s_waitcnt vmcnt(0)
	v_mov_b32_e32 v11, 0
	v_mov_b32_e32 v12, 0
.LBB5_1501:                             ;   in Loop: Header=BB5_1495 Depth=2
	s_mov_b64 s[4:5], s[22:23]
	s_mov_b32 s54, 0
	s_cbranch_execnz .LBB5_1503
.LBB5_1502:                             ;   in Loop: Header=BB5_1495 Depth=2
	global_load_dwordx2 v[11:12], v2, s[22:23]
	s_add_i32 s54, s28, -8
.LBB5_1503:                             ;   in Loop: Header=BB5_1495 Depth=2
	s_add_u32 s30, s4, 8
	s_addc_u32 s31, s5, 0
	s_cmp_gt_u32 s54, 7
	s_cbranch_scc1 .LBB5_1507
; %bb.1504:                             ;   in Loop: Header=BB5_1495 Depth=2
	s_cmp_eq_u32 s54, 0
	s_cbranch_scc1 .LBB5_1508
; %bb.1505:                             ;   in Loop: Header=BB5_1495 Depth=2
	v_mov_b32_e32 v13, 0
	s_mov_b64 s[30:31], 0
	v_mov_b32_e32 v14, 0
	s_mov_b64 s[52:53], 0
.LBB5_1506:                             ;   Parent Loop BB5_280 Depth=1
                                        ;     Parent Loop BB5_1495 Depth=2
                                        ; =>    This Inner Loop Header: Depth=3
	s_add_u32 s56, s4, s52
	s_addc_u32 s57, s5, s53
	global_load_ubyte v1, v2, s[56:57]
	s_add_u32 s52, s52, 1
	s_addc_u32 s53, s53, 0
	s_waitcnt vmcnt(0)
	v_and_b32_e32 v1, 0xffff, v1
	v_lshlrev_b64 v[3:4], s30, v[1:2]
	s_add_u32 s30, s30, 8
	s_addc_u32 s31, s31, 0
	v_or_b32_e32 v13, v3, v13
	s_cmp_lg_u32 s54, s52
	v_or_b32_e32 v14, v4, v14
	s_cbranch_scc1 .LBB5_1506
	s_branch .LBB5_1509
.LBB5_1507:                             ;   in Loop: Header=BB5_1495 Depth=2
                                        ; implicit-def: $vgpr13_vgpr14
	s_mov_b32 s55, 0
	s_branch .LBB5_1510
.LBB5_1508:                             ;   in Loop: Header=BB5_1495 Depth=2
	v_mov_b32_e32 v13, 0
	v_mov_b32_e32 v14, 0
.LBB5_1509:                             ;   in Loop: Header=BB5_1495 Depth=2
	s_mov_b64 s[30:31], s[4:5]
	s_mov_b32 s55, 0
	s_cbranch_execnz .LBB5_1511
.LBB5_1510:                             ;   in Loop: Header=BB5_1495 Depth=2
	global_load_dwordx2 v[13:14], v2, s[4:5]
	s_add_i32 s55, s54, -8
.LBB5_1511:                             ;   in Loop: Header=BB5_1495 Depth=2
	s_add_u32 s4, s30, 8
	s_addc_u32 s5, s31, 0
	s_cmp_gt_u32 s55, 7
	s_cbranch_scc1 .LBB5_1515
; %bb.1512:                             ;   in Loop: Header=BB5_1495 Depth=2
	s_cmp_eq_u32 s55, 0
	s_cbranch_scc1 .LBB5_1516
; %bb.1513:                             ;   in Loop: Header=BB5_1495 Depth=2
	v_mov_b32_e32 v15, 0
	s_mov_b64 s[4:5], 0
	v_mov_b32_e32 v16, 0
	s_mov_b64 s[52:53], 0
.LBB5_1514:                             ;   Parent Loop BB5_280 Depth=1
                                        ;     Parent Loop BB5_1495 Depth=2
                                        ; =>    This Inner Loop Header: Depth=3
	s_add_u32 s56, s30, s52
	s_addc_u32 s57, s31, s53
	global_load_ubyte v1, v2, s[56:57]
	s_add_u32 s52, s52, 1
	s_addc_u32 s53, s53, 0
	s_waitcnt vmcnt(0)
	v_and_b32_e32 v1, 0xffff, v1
	v_lshlrev_b64 v[3:4], s4, v[1:2]
	s_add_u32 s4, s4, 8
	s_addc_u32 s5, s5, 0
	v_or_b32_e32 v15, v3, v15
	s_cmp_lg_u32 s55, s52
	v_or_b32_e32 v16, v4, v16
	s_cbranch_scc1 .LBB5_1514
	s_branch .LBB5_1517
.LBB5_1515:                             ;   in Loop: Header=BB5_1495 Depth=2
	s_mov_b32 s54, 0
	s_branch .LBB5_1518
.LBB5_1516:                             ;   in Loop: Header=BB5_1495 Depth=2
	v_mov_b32_e32 v15, 0
	v_mov_b32_e32 v16, 0
.LBB5_1517:                             ;   in Loop: Header=BB5_1495 Depth=2
	s_mov_b64 s[4:5], s[30:31]
	s_mov_b32 s54, 0
	s_cbranch_execnz .LBB5_1519
.LBB5_1518:                             ;   in Loop: Header=BB5_1495 Depth=2
	global_load_dwordx2 v[15:16], v2, s[30:31]
	s_add_i32 s54, s55, -8
.LBB5_1519:                             ;   in Loop: Header=BB5_1495 Depth=2
	s_add_u32 s30, s4, 8
	s_addc_u32 s31, s5, 0
	s_cmp_gt_u32 s54, 7
	s_cbranch_scc1 .LBB5_1523
; %bb.1520:                             ;   in Loop: Header=BB5_1495 Depth=2
	s_cmp_eq_u32 s54, 0
	s_cbranch_scc1 .LBB5_1524
; %bb.1521:                             ;   in Loop: Header=BB5_1495 Depth=2
	v_mov_b32_e32 v17, 0
	s_mov_b64 s[30:31], 0
	v_mov_b32_e32 v18, 0
	s_mov_b64 s[52:53], 0
.LBB5_1522:                             ;   Parent Loop BB5_280 Depth=1
                                        ;     Parent Loop BB5_1495 Depth=2
                                        ; =>    This Inner Loop Header: Depth=3
	s_add_u32 s56, s4, s52
	s_addc_u32 s57, s5, s53
	global_load_ubyte v1, v2, s[56:57]
	s_add_u32 s52, s52, 1
	s_addc_u32 s53, s53, 0
	s_waitcnt vmcnt(0)
	v_and_b32_e32 v1, 0xffff, v1
	v_lshlrev_b64 v[3:4], s30, v[1:2]
	s_add_u32 s30, s30, 8
	s_addc_u32 s31, s31, 0
	v_or_b32_e32 v17, v3, v17
	s_cmp_lg_u32 s54, s52
	v_or_b32_e32 v18, v4, v18
	s_cbranch_scc1 .LBB5_1522
	s_branch .LBB5_1525
.LBB5_1523:                             ;   in Loop: Header=BB5_1495 Depth=2
                                        ; implicit-def: $vgpr17_vgpr18
	s_mov_b32 s55, 0
	s_branch .LBB5_1526
.LBB5_1524:                             ;   in Loop: Header=BB5_1495 Depth=2
	v_mov_b32_e32 v17, 0
	v_mov_b32_e32 v18, 0
.LBB5_1525:                             ;   in Loop: Header=BB5_1495 Depth=2
	s_mov_b64 s[30:31], s[4:5]
	s_mov_b32 s55, 0
	s_cbranch_execnz .LBB5_1527
.LBB5_1526:                             ;   in Loop: Header=BB5_1495 Depth=2
	global_load_dwordx2 v[17:18], v2, s[4:5]
	s_add_i32 s55, s54, -8
.LBB5_1527:                             ;   in Loop: Header=BB5_1495 Depth=2
	s_add_u32 s4, s30, 8
	s_addc_u32 s5, s31, 0
	s_cmp_gt_u32 s55, 7
	s_cbranch_scc1 .LBB5_1531
; %bb.1528:                             ;   in Loop: Header=BB5_1495 Depth=2
	s_cmp_eq_u32 s55, 0
	s_cbranch_scc1 .LBB5_1532
; %bb.1529:                             ;   in Loop: Header=BB5_1495 Depth=2
	v_mov_b32_e32 v19, 0
	s_mov_b64 s[4:5], 0
	v_mov_b32_e32 v20, 0
	s_mov_b64 s[52:53], 0
.LBB5_1530:                             ;   Parent Loop BB5_280 Depth=1
                                        ;     Parent Loop BB5_1495 Depth=2
                                        ; =>    This Inner Loop Header: Depth=3
	s_add_u32 s56, s30, s52
	s_addc_u32 s57, s31, s53
	global_load_ubyte v1, v2, s[56:57]
	s_add_u32 s52, s52, 1
	s_addc_u32 s53, s53, 0
	s_waitcnt vmcnt(0)
	v_and_b32_e32 v1, 0xffff, v1
	v_lshlrev_b64 v[3:4], s4, v[1:2]
	s_add_u32 s4, s4, 8
	s_addc_u32 s5, s5, 0
	v_or_b32_e32 v19, v3, v19
	s_cmp_lg_u32 s55, s52
	v_or_b32_e32 v20, v4, v20
	s_cbranch_scc1 .LBB5_1530
	s_branch .LBB5_1533
.LBB5_1531:                             ;   in Loop: Header=BB5_1495 Depth=2
	s_mov_b32 s54, 0
	s_branch .LBB5_1534
.LBB5_1532:                             ;   in Loop: Header=BB5_1495 Depth=2
	v_mov_b32_e32 v19, 0
	v_mov_b32_e32 v20, 0
.LBB5_1533:                             ;   in Loop: Header=BB5_1495 Depth=2
	s_mov_b64 s[4:5], s[30:31]
	s_mov_b32 s54, 0
	s_cbranch_execnz .LBB5_1535
.LBB5_1534:                             ;   in Loop: Header=BB5_1495 Depth=2
	global_load_dwordx2 v[19:20], v2, s[30:31]
	s_add_i32 s54, s55, -8
.LBB5_1535:                             ;   in Loop: Header=BB5_1495 Depth=2
	s_add_u32 s30, s4, 8
	s_addc_u32 s31, s5, 0
	s_cmp_gt_u32 s54, 7
	s_cbranch_scc1 .LBB5_1539
; %bb.1536:                             ;   in Loop: Header=BB5_1495 Depth=2
	s_cmp_eq_u32 s54, 0
	s_cbranch_scc1 .LBB5_1540
; %bb.1537:                             ;   in Loop: Header=BB5_1495 Depth=2
	v_mov_b32_e32 v21, 0
	s_mov_b64 s[30:31], 0
	v_mov_b32_e32 v22, 0
	s_mov_b64 s[52:53], 0
.LBB5_1538:                             ;   Parent Loop BB5_280 Depth=1
                                        ;     Parent Loop BB5_1495 Depth=2
                                        ; =>    This Inner Loop Header: Depth=3
	s_add_u32 s56, s4, s52
	s_addc_u32 s57, s5, s53
	global_load_ubyte v1, v2, s[56:57]
	s_add_u32 s52, s52, 1
	s_addc_u32 s53, s53, 0
	s_waitcnt vmcnt(0)
	v_and_b32_e32 v1, 0xffff, v1
	v_lshlrev_b64 v[3:4], s30, v[1:2]
	s_add_u32 s30, s30, 8
	s_addc_u32 s31, s31, 0
	v_or_b32_e32 v21, v3, v21
	s_cmp_lg_u32 s54, s52
	v_or_b32_e32 v22, v4, v22
	s_cbranch_scc1 .LBB5_1538
	s_branch .LBB5_1541
.LBB5_1539:                             ;   in Loop: Header=BB5_1495 Depth=2
                                        ; implicit-def: $vgpr21_vgpr22
	s_mov_b32 s55, 0
	s_branch .LBB5_1542
.LBB5_1540:                             ;   in Loop: Header=BB5_1495 Depth=2
	v_mov_b32_e32 v21, 0
	v_mov_b32_e32 v22, 0
.LBB5_1541:                             ;   in Loop: Header=BB5_1495 Depth=2
	s_mov_b64 s[30:31], s[4:5]
	s_mov_b32 s55, 0
	s_cbranch_execnz .LBB5_1543
.LBB5_1542:                             ;   in Loop: Header=BB5_1495 Depth=2
	global_load_dwordx2 v[21:22], v2, s[4:5]
	s_add_i32 s55, s54, -8
.LBB5_1543:                             ;   in Loop: Header=BB5_1495 Depth=2
	s_cmp_gt_u32 s55, 7
	s_cbranch_scc1 .LBB5_1547
; %bb.1544:                             ;   in Loop: Header=BB5_1495 Depth=2
	s_cmp_eq_u32 s55, 0
	s_cbranch_scc1 .LBB5_1548
; %bb.1545:                             ;   in Loop: Header=BB5_1495 Depth=2
	v_mov_b32_e32 v23, 0
	s_mov_b64 s[4:5], 0
	v_mov_b32_e32 v24, 0
	s_mov_b64 s[52:53], s[30:31]
.LBB5_1546:                             ;   Parent Loop BB5_280 Depth=1
                                        ;     Parent Loop BB5_1495 Depth=2
                                        ; =>    This Inner Loop Header: Depth=3
	global_load_ubyte v1, v2, s[52:53]
	s_add_i32 s55, s55, -1
	s_waitcnt vmcnt(0)
	v_and_b32_e32 v1, 0xffff, v1
	v_lshlrev_b64 v[3:4], s4, v[1:2]
	s_add_u32 s4, s4, 8
	s_addc_u32 s5, s5, 0
	s_add_u32 s52, s52, 1
	s_addc_u32 s53, s53, 0
	v_or_b32_e32 v23, v3, v23
	s_cmp_lg_u32 s55, 0
	v_or_b32_e32 v24, v4, v24
	s_cbranch_scc1 .LBB5_1546
	s_branch .LBB5_1549
.LBB5_1547:                             ;   in Loop: Header=BB5_1495 Depth=2
	s_branch .LBB5_1550
.LBB5_1548:                             ;   in Loop: Header=BB5_1495 Depth=2
	v_mov_b32_e32 v23, 0
	v_mov_b32_e32 v24, 0
.LBB5_1549:                             ;   in Loop: Header=BB5_1495 Depth=2
	s_cbranch_execnz .LBB5_1551
.LBB5_1550:                             ;   in Loop: Header=BB5_1495 Depth=2
	global_load_dwordx2 v[23:24], v2, s[30:31]
.LBB5_1551:                             ;   in Loop: Header=BB5_1495 Depth=2
	v_readfirstlane_b32 s4, v45
	v_mov_b32_e32 v3, 0
	v_mov_b32_e32 v4, 0
	v_cmp_eq_u32_e64 s[4:5], s4, v45
	s_and_saveexec_b64 s[30:31], s[4:5]
	s_cbranch_execz .LBB5_1557
; %bb.1552:                             ;   in Loop: Header=BB5_1495 Depth=2
	global_load_dwordx2 v[27:28], v2, s[34:35] offset:24 glc
	s_waitcnt vmcnt(0)
	buffer_wbinvl1_vol
	global_load_dwordx2 v[3:4], v2, s[34:35] offset:40
	global_load_dwordx2 v[25:26], v2, s[34:35]
	s_waitcnt vmcnt(1)
	v_and_b32_e32 v1, v3, v27
	v_and_b32_e32 v3, v4, v28
	v_mul_lo_u32 v3, v3, 24
	v_mul_hi_u32 v4, v1, 24
	v_mul_lo_u32 v1, v1, 24
	v_add_u32_e32 v4, v4, v3
	s_waitcnt vmcnt(0)
	v_add_co_u32_e32 v3, vcc, v25, v1
	v_addc_co_u32_e32 v4, vcc, v26, v4, vcc
	global_load_dwordx2 v[25:26], v[3:4], off glc
	s_waitcnt vmcnt(0)
	global_atomic_cmpswap_x2 v[3:4], v2, v[25:28], s[34:35] offset:24 glc
	s_waitcnt vmcnt(0)
	buffer_wbinvl1_vol
	v_cmp_ne_u64_e32 vcc, v[3:4], v[27:28]
	s_and_saveexec_b64 s[52:53], vcc
	s_cbranch_execz .LBB5_1556
; %bb.1553:                             ;   in Loop: Header=BB5_1495 Depth=2
	s_mov_b64 s[54:55], 0
.LBB5_1554:                             ;   Parent Loop BB5_280 Depth=1
                                        ;     Parent Loop BB5_1495 Depth=2
                                        ; =>    This Inner Loop Header: Depth=3
	s_sleep 1
	global_load_dwordx2 v[25:26], v2, s[34:35] offset:40
	global_load_dwordx2 v[29:30], v2, s[34:35]
	v_mov_b32_e32 v28, v4
	v_mov_b32_e32 v27, v3
	s_waitcnt vmcnt(1)
	v_and_b32_e32 v1, v25, v27
	s_waitcnt vmcnt(0)
	v_mad_u64_u32 v[3:4], s[56:57], v1, 24, v[29:30]
	v_and_b32_e32 v25, v26, v28
	v_mov_b32_e32 v1, v4
	v_mad_u64_u32 v[25:26], s[56:57], v25, 24, v[1:2]
	v_mov_b32_e32 v4, v25
	global_load_dwordx2 v[25:26], v[3:4], off glc
	s_waitcnt vmcnt(0)
	global_atomic_cmpswap_x2 v[3:4], v2, v[25:28], s[34:35] offset:24 glc
	s_waitcnt vmcnt(0)
	buffer_wbinvl1_vol
	v_cmp_eq_u64_e32 vcc, v[3:4], v[27:28]
	s_or_b64 s[54:55], vcc, s[54:55]
	s_andn2_b64 exec, exec, s[54:55]
	s_cbranch_execnz .LBB5_1554
; %bb.1555:                             ;   in Loop: Header=BB5_1495 Depth=2
	s_or_b64 exec, exec, s[54:55]
.LBB5_1556:                             ;   in Loop: Header=BB5_1495 Depth=2
	s_or_b64 exec, exec, s[52:53]
.LBB5_1557:                             ;   in Loop: Header=BB5_1495 Depth=2
	s_or_b64 exec, exec, s[30:31]
	global_load_dwordx2 v[29:30], v2, s[34:35] offset:40
	global_load_dwordx4 v[25:28], v2, s[34:35]
	v_readfirstlane_b32 s31, v4
	v_readfirstlane_b32 s30, v3
	s_mov_b64 s[52:53], exec
	s_waitcnt vmcnt(1)
	v_readfirstlane_b32 s54, v29
	v_readfirstlane_b32 s55, v30
	s_and_b64 s[54:55], s[54:55], s[30:31]
	s_mul_i32 s56, s55, 24
	s_mul_hi_u32 s57, s54, 24
	s_mul_i32 s58, s54, 24
	s_add_i32 s56, s57, s56
	v_mov_b32_e32 v1, s56
	s_waitcnt vmcnt(0)
	v_add_co_u32_e32 v29, vcc, s58, v25
	v_addc_co_u32_e32 v30, vcc, v26, v1, vcc
	s_and_saveexec_b64 s[56:57], s[4:5]
	s_cbranch_execz .LBB5_1559
; %bb.1558:                             ;   in Loop: Header=BB5_1495 Depth=2
	v_mov_b32_e32 v3, s52
	v_mov_b32_e32 v4, s53
	global_store_dwordx4 v[29:30], v[3:6], off offset:8
.LBB5_1559:                             ;   in Loop: Header=BB5_1495 Depth=2
	s_or_b64 exec, exec, s[56:57]
	s_lshl_b64 s[52:53], s[54:55], 12
	v_cmp_gt_u64_e64 s[54:55], s[24:25], 56
	v_mov_b32_e32 v1, s53
	v_add_co_u32_e32 v27, vcc, s52, v27
	s_and_b64 s[52:53], s[54:55], exec
	s_cselect_b32 s52, 0, 2
	s_lshl_b32 s53, s28, 2
	v_addc_co_u32_e32 v28, vcc, v28, v1, vcc
	s_add_i32 s53, s53, 28
	v_and_b32_e32 v1, 0xffffff1f, v9
	s_and_b32 s53, s53, 0x1e0
	v_or_b32_e32 v1, s52, v1
	v_or_b32_e32 v9, s53, v1
	v_readfirstlane_b32 s52, v27
	v_readfirstlane_b32 s53, v28
	s_nop 4
	global_store_dwordx4 v44, v[9:12], s[52:53]
	global_store_dwordx4 v44, v[13:16], s[52:53] offset:16
	global_store_dwordx4 v44, v[17:20], s[52:53] offset:32
	;; [unrolled: 1-line block ×3, first 2 shown]
	s_and_saveexec_b64 s[52:53], s[4:5]
	s_cbranch_execz .LBB5_1567
; %bb.1560:                             ;   in Loop: Header=BB5_1495 Depth=2
	global_load_dwordx2 v[13:14], v2, s[34:35] offset:32 glc
	global_load_dwordx2 v[3:4], v2, s[34:35] offset:40
	v_mov_b32_e32 v11, s30
	v_mov_b32_e32 v12, s31
	s_waitcnt vmcnt(0)
	v_readfirstlane_b32 s54, v3
	v_readfirstlane_b32 s55, v4
	s_and_b64 s[54:55], s[54:55], s[30:31]
	s_mul_i32 s55, s55, 24
	s_mul_hi_u32 s56, s54, 24
	s_mul_i32 s54, s54, 24
	s_add_i32 s55, s56, s55
	v_mov_b32_e32 v1, s55
	v_add_co_u32_e32 v3, vcc, s54, v25
	v_addc_co_u32_e32 v4, vcc, v26, v1, vcc
	global_store_dwordx2 v[3:4], v[13:14], off
	s_waitcnt vmcnt(0)
	global_atomic_cmpswap_x2 v[11:12], v2, v[11:14], s[34:35] offset:32 glc
	s_waitcnt vmcnt(0)
	v_cmp_ne_u64_e32 vcc, v[11:12], v[13:14]
	s_and_saveexec_b64 s[54:55], vcc
	s_cbranch_execz .LBB5_1563
; %bb.1561:                             ;   in Loop: Header=BB5_1495 Depth=2
	s_mov_b64 s[56:57], 0
.LBB5_1562:                             ;   Parent Loop BB5_280 Depth=1
                                        ;     Parent Loop BB5_1495 Depth=2
                                        ; =>    This Inner Loop Header: Depth=3
	s_sleep 1
	global_store_dwordx2 v[3:4], v[11:12], off
	v_mov_b32_e32 v9, s30
	v_mov_b32_e32 v10, s31
	s_waitcnt vmcnt(0)
	global_atomic_cmpswap_x2 v[9:10], v2, v[9:12], s[34:35] offset:32 glc
	s_waitcnt vmcnt(0)
	v_cmp_eq_u64_e32 vcc, v[9:10], v[11:12]
	v_mov_b32_e32 v12, v10
	s_or_b64 s[56:57], vcc, s[56:57]
	v_mov_b32_e32 v11, v9
	s_andn2_b64 exec, exec, s[56:57]
	s_cbranch_execnz .LBB5_1562
.LBB5_1563:                             ;   in Loop: Header=BB5_1495 Depth=2
	s_or_b64 exec, exec, s[54:55]
	global_load_dwordx2 v[3:4], v2, s[34:35] offset:16
	s_mov_b64 s[56:57], exec
	v_mbcnt_lo_u32_b32 v1, s56, 0
	v_mbcnt_hi_u32_b32 v1, s57, v1
	v_cmp_eq_u32_e32 vcc, 0, v1
	s_and_saveexec_b64 s[54:55], vcc
	s_cbranch_execz .LBB5_1565
; %bb.1564:                             ;   in Loop: Header=BB5_1495 Depth=2
	s_bcnt1_i32_b64 s56, s[56:57]
	v_mov_b32_e32 v1, s56
	s_waitcnt vmcnt(0)
	global_atomic_add_x2 v[3:4], v[1:2], off offset:8
.LBB5_1565:                             ;   in Loop: Header=BB5_1495 Depth=2
	s_or_b64 exec, exec, s[54:55]
	s_waitcnt vmcnt(0)
	global_load_dwordx2 v[9:10], v[3:4], off offset:16
	s_waitcnt vmcnt(0)
	v_cmp_eq_u64_e32 vcc, 0, v[9:10]
	s_cbranch_vccnz .LBB5_1567
; %bb.1566:                             ;   in Loop: Header=BB5_1495 Depth=2
	global_load_dword v1, v[3:4], off offset:24
	s_waitcnt vmcnt(0)
	v_readfirstlane_b32 s54, v1
	s_and_b32 m0, s54, 0xffffff
	global_store_dwordx2 v[9:10], v[1:2], off
	s_sendmsg sendmsg(MSG_INTERRUPT)
.LBB5_1567:                             ;   in Loop: Header=BB5_1495 Depth=2
	s_or_b64 exec, exec, s[52:53]
	v_add_co_u32_e32 v3, vcc, v27, v44
	v_addc_co_u32_e32 v4, vcc, 0, v28, vcc
	s_branch .LBB5_1571
.LBB5_1568:                             ;   in Loop: Header=BB5_1571 Depth=3
	s_or_b64 exec, exec, s[52:53]
	v_readfirstlane_b32 s52, v1
	s_cmp_eq_u32 s52, 0
	s_cbranch_scc1 .LBB5_1570
; %bb.1569:                             ;   in Loop: Header=BB5_1571 Depth=3
	s_sleep 1
	s_cbranch_execnz .LBB5_1571
	s_branch .LBB5_1573
.LBB5_1570:                             ;   in Loop: Header=BB5_1495 Depth=2
	s_branch .LBB5_1573
.LBB5_1571:                             ;   Parent Loop BB5_280 Depth=1
                                        ;     Parent Loop BB5_1495 Depth=2
                                        ; =>    This Inner Loop Header: Depth=3
	v_mov_b32_e32 v1, 1
	s_and_saveexec_b64 s[52:53], s[4:5]
	s_cbranch_execz .LBB5_1568
; %bb.1572:                             ;   in Loop: Header=BB5_1571 Depth=3
	global_load_dword v1, v[29:30], off offset:20 glc
	s_waitcnt vmcnt(0)
	buffer_wbinvl1_vol
	v_and_b32_e32 v1, 1, v1
	s_branch .LBB5_1568
.LBB5_1573:                             ;   in Loop: Header=BB5_1495 Depth=2
	global_load_dwordx4 v[9:12], v[3:4], off
	s_and_saveexec_b64 s[52:53], s[4:5]
	s_cbranch_execz .LBB5_1494
; %bb.1574:                             ;   in Loop: Header=BB5_1495 Depth=2
	global_load_dwordx2 v[3:4], v2, s[34:35] offset:40
	global_load_dwordx2 v[15:16], v2, s[34:35] offset:24 glc
	global_load_dwordx2 v[11:12], v2, s[34:35]
	s_waitcnt vmcnt(2)
	v_readfirstlane_b32 s54, v3
	v_readfirstlane_b32 s55, v4
	s_add_u32 s56, s54, 1
	s_addc_u32 s57, s55, 0
	s_add_u32 s4, s56, s30
	s_addc_u32 s5, s57, s31
	s_cmp_eq_u64 s[4:5], 0
	s_cselect_b32 s5, s57, s5
	s_cselect_b32 s4, s56, s4
	s_and_b64 s[30:31], s[4:5], s[54:55]
	s_mul_i32 s31, s31, 24
	s_mul_hi_u32 s54, s30, 24
	s_mul_i32 s30, s30, 24
	s_add_i32 s31, s54, s31
	v_mov_b32_e32 v1, s31
	s_waitcnt vmcnt(0)
	v_add_co_u32_e32 v3, vcc, s30, v11
	v_addc_co_u32_e32 v4, vcc, v12, v1, vcc
	v_mov_b32_e32 v13, s4
	global_store_dwordx2 v[3:4], v[15:16], off
	v_mov_b32_e32 v14, s5
	s_waitcnt vmcnt(0)
	global_atomic_cmpswap_x2 v[13:14], v2, v[13:16], s[34:35] offset:24 glc
	s_waitcnt vmcnt(0)
	v_cmp_ne_u64_e32 vcc, v[13:14], v[15:16]
	s_and_b64 exec, exec, vcc
	s_cbranch_execz .LBB5_1494
; %bb.1575:                             ;   in Loop: Header=BB5_1495 Depth=2
	s_mov_b64 s[30:31], 0
.LBB5_1576:                             ;   Parent Loop BB5_280 Depth=1
                                        ;     Parent Loop BB5_1495 Depth=2
                                        ; =>    This Inner Loop Header: Depth=3
	s_sleep 1
	global_store_dwordx2 v[3:4], v[13:14], off
	v_mov_b32_e32 v11, s4
	v_mov_b32_e32 v12, s5
	s_waitcnt vmcnt(0)
	global_atomic_cmpswap_x2 v[11:12], v2, v[11:14], s[34:35] offset:24 glc
	s_waitcnt vmcnt(0)
	v_cmp_eq_u64_e32 vcc, v[11:12], v[13:14]
	v_mov_b32_e32 v14, v12
	s_or_b64 s[30:31], vcc, s[30:31]
	v_mov_b32_e32 v13, v11
	s_andn2_b64 exec, exec, s[30:31]
	s_cbranch_execnz .LBB5_1576
	s_branch .LBB5_1494
.LBB5_1577:                             ;   in Loop: Header=BB5_280 Depth=1
	s_branch .LBB5_279
.LBB5_1578:                             ;   in Loop: Header=BB5_280 Depth=1
	s_cbranch_execz .LBB5_279
; %bb.1579:                             ;   in Loop: Header=BB5_280 Depth=1
	v_readfirstlane_b32 s4, v45
	v_mov_b32_e32 v3, 0
	v_mov_b32_e32 v4, 0
	v_cmp_eq_u32_e64 s[4:5], s4, v45
	s_and_saveexec_b64 s[22:23], s[4:5]
	s_cbranch_execz .LBB5_1585
; %bb.1580:                             ;   in Loop: Header=BB5_280 Depth=1
	global_load_dwordx2 v[11:12], v2, s[34:35] offset:24 glc
	s_waitcnt vmcnt(0)
	buffer_wbinvl1_vol
	global_load_dwordx2 v[3:4], v2, s[34:35] offset:40
	global_load_dwordx2 v[9:10], v2, s[34:35]
	s_waitcnt vmcnt(1)
	v_and_b32_e32 v1, v3, v11
	v_and_b32_e32 v3, v4, v12
	v_mul_lo_u32 v3, v3, 24
	v_mul_hi_u32 v4, v1, 24
	v_mul_lo_u32 v1, v1, 24
	v_add_u32_e32 v4, v4, v3
	s_waitcnt vmcnt(0)
	v_add_co_u32_e32 v3, vcc, v9, v1
	v_addc_co_u32_e32 v4, vcc, v10, v4, vcc
	global_load_dwordx2 v[9:10], v[3:4], off glc
	s_waitcnt vmcnt(0)
	global_atomic_cmpswap_x2 v[3:4], v2, v[9:12], s[34:35] offset:24 glc
	s_waitcnt vmcnt(0)
	buffer_wbinvl1_vol
	v_cmp_ne_u64_e32 vcc, v[3:4], v[11:12]
	s_and_saveexec_b64 s[24:25], vcc
	s_cbranch_execz .LBB5_1584
; %bb.1581:                             ;   in Loop: Header=BB5_280 Depth=1
	s_mov_b64 s[28:29], 0
.LBB5_1582:                             ;   Parent Loop BB5_280 Depth=1
                                        ; =>  This Inner Loop Header: Depth=2
	s_sleep 1
	global_load_dwordx2 v[9:10], v2, s[34:35] offset:40
	global_load_dwordx2 v[13:14], v2, s[34:35]
	v_mov_b32_e32 v12, v4
	v_mov_b32_e32 v11, v3
	s_waitcnt vmcnt(1)
	v_and_b32_e32 v1, v9, v11
	s_waitcnt vmcnt(0)
	v_mad_u64_u32 v[3:4], s[30:31], v1, 24, v[13:14]
	v_and_b32_e32 v9, v10, v12
	v_mov_b32_e32 v1, v4
	v_mad_u64_u32 v[9:10], s[30:31], v9, 24, v[1:2]
	v_mov_b32_e32 v4, v9
	global_load_dwordx2 v[9:10], v[3:4], off glc
	s_waitcnt vmcnt(0)
	global_atomic_cmpswap_x2 v[3:4], v2, v[9:12], s[34:35] offset:24 glc
	s_waitcnt vmcnt(0)
	buffer_wbinvl1_vol
	v_cmp_eq_u64_e32 vcc, v[3:4], v[11:12]
	s_or_b64 s[28:29], vcc, s[28:29]
	s_andn2_b64 exec, exec, s[28:29]
	s_cbranch_execnz .LBB5_1582
; %bb.1583:                             ;   in Loop: Header=BB5_280 Depth=1
	s_or_b64 exec, exec, s[28:29]
.LBB5_1584:                             ;   in Loop: Header=BB5_280 Depth=1
	s_or_b64 exec, exec, s[24:25]
.LBB5_1585:                             ;   in Loop: Header=BB5_280 Depth=1
	s_or_b64 exec, exec, s[22:23]
	global_load_dwordx2 v[9:10], v2, s[34:35] offset:40
	global_load_dwordx4 v[11:14], v2, s[34:35]
	v_readfirstlane_b32 s23, v4
	v_readfirstlane_b32 s22, v3
	s_mov_b64 s[24:25], exec
	s_waitcnt vmcnt(1)
	v_readfirstlane_b32 s28, v9
	v_readfirstlane_b32 s29, v10
	s_and_b64 s[28:29], s[28:29], s[22:23]
	s_mul_i32 s30, s29, 24
	s_mul_hi_u32 s31, s28, 24
	s_mul_i32 s52, s28, 24
	s_add_i32 s30, s31, s30
	v_mov_b32_e32 v1, s30
	s_waitcnt vmcnt(0)
	v_add_co_u32_e32 v15, vcc, s52, v11
	v_addc_co_u32_e32 v16, vcc, v12, v1, vcc
	s_and_saveexec_b64 s[30:31], s[4:5]
	s_cbranch_execz .LBB5_1587
; %bb.1586:                             ;   in Loop: Header=BB5_280 Depth=1
	v_mov_b32_e32 v3, s24
	v_mov_b32_e32 v4, s25
	global_store_dwordx4 v[15:16], v[3:6], off offset:8
.LBB5_1587:                             ;   in Loop: Header=BB5_280 Depth=1
	s_or_b64 exec, exec, s[30:31]
	s_lshl_b64 s[24:25], s[28:29], 12
	v_mov_b32_e32 v1, s25
	v_add_co_u32_e32 v3, vcc, s24, v13
	v_addc_co_u32_e32 v1, vcc, v14, v1, vcc
	v_and_or_b32 v7, v7, s60, 34
	v_mov_b32_e32 v9, v2
	v_mov_b32_e32 v10, v2
	v_readfirstlane_b32 s24, v3
	v_readfirstlane_b32 s25, v1
	s_nop 4
	global_store_dwordx4 v44, v[7:10], s[24:25]
	s_nop 0
	v_mov_b32_e32 v7, s8
	v_mov_b32_e32 v8, s9
	;; [unrolled: 1-line block ×4, first 2 shown]
	global_store_dwordx4 v44, v[7:10], s[24:25] offset:16
	global_store_dwordx4 v44, v[7:10], s[24:25] offset:32
	;; [unrolled: 1-line block ×3, first 2 shown]
	s_and_saveexec_b64 s[24:25], s[4:5]
	s_cbranch_execz .LBB5_1595
; %bb.1588:                             ;   in Loop: Header=BB5_280 Depth=1
	global_load_dwordx2 v[19:20], v2, s[34:35] offset:32 glc
	global_load_dwordx2 v[3:4], v2, s[34:35] offset:40
	v_mov_b32_e32 v17, s22
	v_mov_b32_e32 v18, s23
	s_waitcnt vmcnt(0)
	v_readfirstlane_b32 s28, v3
	v_readfirstlane_b32 s29, v4
	s_and_b64 s[28:29], s[28:29], s[22:23]
	s_mul_i32 s29, s29, 24
	s_mul_hi_u32 s30, s28, 24
	s_mul_i32 s28, s28, 24
	s_add_i32 s29, s30, s29
	v_mov_b32_e32 v1, s29
	v_add_co_u32_e32 v3, vcc, s28, v11
	v_addc_co_u32_e32 v4, vcc, v12, v1, vcc
	global_store_dwordx2 v[3:4], v[19:20], off
	s_waitcnt vmcnt(0)
	global_atomic_cmpswap_x2 v[9:10], v2, v[17:20], s[34:35] offset:32 glc
	s_waitcnt vmcnt(0)
	v_cmp_ne_u64_e32 vcc, v[9:10], v[19:20]
	s_and_saveexec_b64 s[28:29], vcc
	s_cbranch_execz .LBB5_1591
; %bb.1589:                             ;   in Loop: Header=BB5_280 Depth=1
	s_mov_b64 s[30:31], 0
.LBB5_1590:                             ;   Parent Loop BB5_280 Depth=1
                                        ; =>  This Inner Loop Header: Depth=2
	s_sleep 1
	global_store_dwordx2 v[3:4], v[9:10], off
	v_mov_b32_e32 v7, s22
	v_mov_b32_e32 v8, s23
	s_waitcnt vmcnt(0)
	global_atomic_cmpswap_x2 v[7:8], v2, v[7:10], s[34:35] offset:32 glc
	s_waitcnt vmcnt(0)
	v_cmp_eq_u64_e32 vcc, v[7:8], v[9:10]
	v_mov_b32_e32 v10, v8
	s_or_b64 s[30:31], vcc, s[30:31]
	v_mov_b32_e32 v9, v7
	s_andn2_b64 exec, exec, s[30:31]
	s_cbranch_execnz .LBB5_1590
.LBB5_1591:                             ;   in Loop: Header=BB5_280 Depth=1
	s_or_b64 exec, exec, s[28:29]
	global_load_dwordx2 v[3:4], v2, s[34:35] offset:16
	s_mov_b64 s[30:31], exec
	v_mbcnt_lo_u32_b32 v1, s30, 0
	v_mbcnt_hi_u32_b32 v1, s31, v1
	v_cmp_eq_u32_e32 vcc, 0, v1
	s_and_saveexec_b64 s[28:29], vcc
	s_cbranch_execz .LBB5_1593
; %bb.1592:                             ;   in Loop: Header=BB5_280 Depth=1
	s_bcnt1_i32_b64 s30, s[30:31]
	v_mov_b32_e32 v1, s30
	s_waitcnt vmcnt(0)
	global_atomic_add_x2 v[3:4], v[1:2], off offset:8
.LBB5_1593:                             ;   in Loop: Header=BB5_280 Depth=1
	s_or_b64 exec, exec, s[28:29]
	s_waitcnt vmcnt(0)
	global_load_dwordx2 v[7:8], v[3:4], off offset:16
	s_waitcnt vmcnt(0)
	v_cmp_eq_u64_e32 vcc, 0, v[7:8]
	s_cbranch_vccnz .LBB5_1595
; %bb.1594:                             ;   in Loop: Header=BB5_280 Depth=1
	global_load_dword v1, v[3:4], off offset:24
	s_waitcnt vmcnt(0)
	v_readfirstlane_b32 s28, v1
	s_and_b32 m0, s28, 0xffffff
	global_store_dwordx2 v[7:8], v[1:2], off
	s_sendmsg sendmsg(MSG_INTERRUPT)
.LBB5_1595:                             ;   in Loop: Header=BB5_280 Depth=1
	s_or_b64 exec, exec, s[24:25]
	s_branch .LBB5_1599
.LBB5_1596:                             ;   in Loop: Header=BB5_1599 Depth=2
	s_or_b64 exec, exec, s[24:25]
	v_readfirstlane_b32 s24, v1
	s_cmp_eq_u32 s24, 0
	s_cbranch_scc1 .LBB5_1598
; %bb.1597:                             ;   in Loop: Header=BB5_1599 Depth=2
	s_sleep 1
	s_cbranch_execnz .LBB5_1599
	s_branch .LBB5_1601
.LBB5_1598:                             ;   in Loop: Header=BB5_280 Depth=1
	s_branch .LBB5_1601
.LBB5_1599:                             ;   Parent Loop BB5_280 Depth=1
                                        ; =>  This Inner Loop Header: Depth=2
	v_mov_b32_e32 v1, 1
	s_and_saveexec_b64 s[24:25], s[4:5]
	s_cbranch_execz .LBB5_1596
; %bb.1600:                             ;   in Loop: Header=BB5_1599 Depth=2
	global_load_dword v1, v[15:16], off offset:20 glc
	s_waitcnt vmcnt(0)
	buffer_wbinvl1_vol
	v_and_b32_e32 v1, 1, v1
	s_branch .LBB5_1596
.LBB5_1601:                             ;   in Loop: Header=BB5_280 Depth=1
	s_and_saveexec_b64 s[24:25], s[4:5]
	s_cbranch_execz .LBB5_278
; %bb.1602:                             ;   in Loop: Header=BB5_280 Depth=1
	global_load_dwordx2 v[3:4], v2, s[34:35] offset:40
	global_load_dwordx2 v[11:12], v2, s[34:35] offset:24 glc
	global_load_dwordx2 v[7:8], v2, s[34:35]
	s_waitcnt vmcnt(2)
	v_readfirstlane_b32 s28, v3
	v_readfirstlane_b32 s29, v4
	s_add_u32 s30, s28, 1
	s_addc_u32 s31, s29, 0
	s_add_u32 s4, s30, s22
	s_addc_u32 s5, s31, s23
	s_cmp_eq_u64 s[4:5], 0
	s_cselect_b32 s5, s31, s5
	s_cselect_b32 s4, s30, s4
	s_and_b64 s[22:23], s[4:5], s[28:29]
	s_mul_i32 s23, s23, 24
	s_mul_hi_u32 s28, s22, 24
	s_mul_i32 s22, s22, 24
	s_add_i32 s23, s28, s23
	v_mov_b32_e32 v1, s23
	s_waitcnt vmcnt(0)
	v_add_co_u32_e32 v3, vcc, s22, v7
	v_addc_co_u32_e32 v4, vcc, v8, v1, vcc
	v_mov_b32_e32 v9, s4
	global_store_dwordx2 v[3:4], v[11:12], off
	v_mov_b32_e32 v10, s5
	s_waitcnt vmcnt(0)
	global_atomic_cmpswap_x2 v[9:10], v2, v[9:12], s[34:35] offset:24 glc
	s_waitcnt vmcnt(0)
	v_cmp_ne_u64_e32 vcc, v[9:10], v[11:12]
	s_and_b64 exec, exec, vcc
	s_cbranch_execz .LBB5_278
; %bb.1603:                             ;   in Loop: Header=BB5_280 Depth=1
	s_mov_b64 s[22:23], 0
.LBB5_1604:                             ;   Parent Loop BB5_280 Depth=1
                                        ; =>  This Inner Loop Header: Depth=2
	s_sleep 1
	global_store_dwordx2 v[3:4], v[9:10], off
	v_mov_b32_e32 v7, s4
	v_mov_b32_e32 v8, s5
	s_waitcnt vmcnt(0)
	global_atomic_cmpswap_x2 v[7:8], v2, v[7:10], s[34:35] offset:24 glc
	s_waitcnt vmcnt(0)
	v_cmp_eq_u64_e32 vcc, v[7:8], v[9:10]
	v_mov_b32_e32 v10, v8
	s_or_b64 s[22:23], vcc, s[22:23]
	v_mov_b32_e32 v9, v7
	s_andn2_b64 exec, exec, s[22:23]
	s_cbranch_execnz .LBB5_1604
	s_branch .LBB5_278
.LBB5_1605:
	v_mov_b32_e32 v39, 0
	global_load_dword v37, v39, s[40:41]
	s_waitcnt vmcnt(0)
	v_cmp_gt_i32_e32 vcc, 1, v37
	s_cbranch_vccnz .LBB5_1665
; %bb.1606:
	s_getpc_b64 s[4:5]
	s_add_u32 s4, s4, .str.2@rel32@lo+4
	s_addc_u32 s5, s5, .str.2@rel32@hi+12
	s_getpc_b64 s[6:7]
	s_add_u32 s6, s6, .str.9@rel32@lo+4
	s_addc_u32 s7, s7, .str.9@rel32@hi+12
	s_cmp_lg_u64 s[4:5], 0
	s_mov_b32 s51, 0
	s_cselect_b32 s25, 4, 0
	s_cmp_lg_u64 s[6:7], 0
	s_cselect_b32 s33, 6, 0
	s_mov_b32 s44, s51
	s_mov_b32 s45, s51
	;; [unrolled: 1-line block ×4, first 2 shown]
	s_movk_i32 s54, 0xff1d
	v_mov_b32_e32 v42, 2
	v_mov_b32_e32 v43, 1
	;; [unrolled: 1-line block ×3, first 2 shown]
	s_mov_b32 s50, s51
	s_branch .LBB5_1608
.LBB5_1607:                             ;   in Loop: Header=BB5_1608 Depth=1
	s_ashr_i32 s55, s28, 1
	s_add_u32 s28, s26, 0x48
	s_addc_u32 s29, s27, 0
	s_getpc_b64 s[6:7]
	s_add_u32 s6, s6, __ockl_printf_append_string_n@rel32@lo+4
	s_addc_u32 s7, s7, __ockl_printf_append_string_n@rel32@hi+12
	s_mov_b64 s[8:9], s[28:29]
	v_mov_b32_e32 v2, s52
	v_mov_b32_e32 v3, s53
	;; [unrolled: 1-line block ×5, first 2 shown]
	s_swappc_b64 s[30:31], s[6:7]
	s_getpc_b64 s[4:5]
	s_add_u32 s4, s4, __ockl_printf_append_args@rel32@lo+4
	s_addc_u32 s5, s5, __ockl_printf_append_args@rel32@hi+12
	s_mov_b64 s[8:9], s[28:29]
	v_mov_b32_e32 v2, s55
	v_mov_b32_e32 v3, 0
	;; [unrolled: 1-line block ×3, first 2 shown]
	s_swappc_b64 s[30:31], s[4:5]
	global_load_dword v37, v39, s[40:41]
	s_add_i32 s50, s50, 1
	s_waitcnt vmcnt(0)
	v_cmp_ge_i32_e32 vcc, s50, v37
	s_cbranch_vccnz .LBB5_1664
.LBB5_1608:                             ; =>This Loop Header: Depth=1
                                        ;     Child Loop BB5_1611 Depth 2
                                        ;     Child Loop BB5_1619 Depth 2
	;; [unrolled: 1-line block ×9, first 2 shown]
	global_load_dword v37, v39, s[36:37]
	v_readfirstlane_b32 s4, v45
	v_mov_b32_e32 v4, 0
	v_mov_b32_e32 v5, 0
	v_cmp_eq_u32_e64 s[4:5], s4, v45
	s_and_saveexec_b64 s[6:7], s[4:5]
	s_cbranch_execz .LBB5_1614
; %bb.1609:                             ;   in Loop: Header=BB5_1608 Depth=1
	global_load_dwordx2 v[2:3], v39, s[34:35] offset:24 glc
	s_waitcnt vmcnt(0)
	buffer_wbinvl1_vol
	global_load_dwordx2 v[0:1], v39, s[34:35] offset:40
	global_load_dwordx2 v[4:5], v39, s[34:35]
	s_waitcnt vmcnt(1)
	v_and_b32_e32 v0, v0, v2
	v_and_b32_e32 v1, v1, v3
	v_mul_lo_u32 v1, v1, 24
	v_mul_hi_u32 v6, v0, 24
	v_mul_lo_u32 v0, v0, 24
	v_add_u32_e32 v1, v6, v1
	s_waitcnt vmcnt(0)
	v_add_co_u32_e32 v0, vcc, v4, v0
	v_addc_co_u32_e32 v1, vcc, v5, v1, vcc
	global_load_dwordx2 v[0:1], v[0:1], off glc
	s_waitcnt vmcnt(0)
	global_atomic_cmpswap_x2 v[4:5], v39, v[0:3], s[34:35] offset:24 glc
	s_waitcnt vmcnt(0)
	buffer_wbinvl1_vol
	v_cmp_ne_u64_e32 vcc, v[4:5], v[2:3]
	s_and_saveexec_b64 s[8:9], vcc
	s_cbranch_execz .LBB5_1613
; %bb.1610:                             ;   in Loop: Header=BB5_1608 Depth=1
	s_mov_b64 s[10:11], 0
.LBB5_1611:                             ;   Parent Loop BB5_1608 Depth=1
                                        ; =>  This Inner Loop Header: Depth=2
	s_sleep 1
	global_load_dwordx2 v[0:1], v39, s[34:35] offset:40
	global_load_dwordx2 v[6:7], v39, s[34:35]
	v_mov_b32_e32 v2, v4
	v_mov_b32_e32 v3, v5
	s_waitcnt vmcnt(1)
	v_and_b32_e32 v0, v0, v2
	s_waitcnt vmcnt(0)
	v_mad_u64_u32 v[4:5], s[12:13], v0, 24, v[6:7]
	v_and_b32_e32 v1, v1, v3
	v_mov_b32_e32 v0, v5
	v_mad_u64_u32 v[0:1], s[12:13], v1, 24, v[0:1]
	v_mov_b32_e32 v5, v0
	global_load_dwordx2 v[0:1], v[4:5], off glc
	s_waitcnt vmcnt(0)
	global_atomic_cmpswap_x2 v[4:5], v39, v[0:3], s[34:35] offset:24 glc
	s_waitcnt vmcnt(0)
	buffer_wbinvl1_vol
	v_cmp_eq_u64_e32 vcc, v[4:5], v[2:3]
	s_or_b64 s[10:11], vcc, s[10:11]
	s_andn2_b64 exec, exec, s[10:11]
	s_cbranch_execnz .LBB5_1611
; %bb.1612:                             ;   in Loop: Header=BB5_1608 Depth=1
	s_or_b64 exec, exec, s[10:11]
.LBB5_1613:                             ;   in Loop: Header=BB5_1608 Depth=1
	s_or_b64 exec, exec, s[8:9]
.LBB5_1614:                             ;   in Loop: Header=BB5_1608 Depth=1
	s_or_b64 exec, exec, s[6:7]
	global_load_dwordx2 v[6:7], v39, s[34:35] offset:40
	global_load_dwordx4 v[0:3], v39, s[34:35]
	v_readfirstlane_b32 s7, v5
	v_readfirstlane_b32 s6, v4
	s_mov_b64 s[8:9], exec
	s_waitcnt vmcnt(1)
	v_readfirstlane_b32 s10, v6
	v_readfirstlane_b32 s11, v7
	s_and_b64 s[10:11], s[10:11], s[6:7]
	s_mul_i32 s12, s11, 24
	s_mul_hi_u32 s13, s10, 24
	s_mul_i32 s14, s10, 24
	s_add_i32 s12, s13, s12
	v_mov_b32_e32 v5, s12
	s_waitcnt vmcnt(0)
	v_add_co_u32_e32 v4, vcc, s14, v0
	v_addc_co_u32_e32 v5, vcc, v1, v5, vcc
	s_and_saveexec_b64 s[12:13], s[4:5]
	s_cbranch_execz .LBB5_1616
; %bb.1615:                             ;   in Loop: Header=BB5_1608 Depth=1
	v_mov_b32_e32 v41, s9
	v_mov_b32_e32 v40, s8
	global_store_dwordx4 v[4:5], v[40:43], off offset:8
.LBB5_1616:                             ;   in Loop: Header=BB5_1608 Depth=1
	s_or_b64 exec, exec, s[12:13]
	s_lshl_b64 s[8:9], s[10:11], 12
	v_mov_b32_e32 v6, s9
	v_add_co_u32_e32 v8, vcc, s8, v2
	v_addc_co_u32_e32 v9, vcc, v3, v6, vcc
	v_mov_b32_e32 v10, s44
	v_mov_b32_e32 v40, v39
	;; [unrolled: 1-line block ×3, first 2 shown]
	v_readfirstlane_b32 s8, v8
	v_readfirstlane_b32 s9, v9
	v_mov_b32_e32 v11, s45
	v_mov_b32_e32 v12, s46
	;; [unrolled: 1-line block ×3, first 2 shown]
	s_nop 1
	global_store_dwordx4 v44, v[38:41], s[8:9]
	global_store_dwordx4 v44, v[10:13], s[8:9] offset:16
	global_store_dwordx4 v44, v[10:13], s[8:9] offset:32
	;; [unrolled: 1-line block ×3, first 2 shown]
	s_and_saveexec_b64 s[8:9], s[4:5]
	s_cbranch_execz .LBB5_1624
; %bb.1617:                             ;   in Loop: Header=BB5_1608 Depth=1
	global_load_dwordx2 v[12:13], v39, s[34:35] offset:32 glc
	global_load_dwordx2 v[2:3], v39, s[34:35] offset:40
	v_mov_b32_e32 v10, s6
	v_mov_b32_e32 v11, s7
	s_waitcnt vmcnt(0)
	v_readfirstlane_b32 s10, v2
	v_readfirstlane_b32 s11, v3
	s_and_b64 s[10:11], s[10:11], s[6:7]
	s_mul_i32 s11, s11, 24
	s_mul_hi_u32 s12, s10, 24
	s_mul_i32 s10, s10, 24
	s_add_i32 s11, s12, s11
	v_mov_b32_e32 v2, s11
	v_add_co_u32_e32 v6, vcc, s10, v0
	v_addc_co_u32_e32 v7, vcc, v1, v2, vcc
	global_store_dwordx2 v[6:7], v[12:13], off
	s_waitcnt vmcnt(0)
	global_atomic_cmpswap_x2 v[2:3], v39, v[10:13], s[34:35] offset:32 glc
	s_waitcnt vmcnt(0)
	v_cmp_ne_u64_e32 vcc, v[2:3], v[12:13]
	s_and_saveexec_b64 s[10:11], vcc
	s_cbranch_execz .LBB5_1620
; %bb.1618:                             ;   in Loop: Header=BB5_1608 Depth=1
	s_mov_b64 s[12:13], 0
.LBB5_1619:                             ;   Parent Loop BB5_1608 Depth=1
                                        ; =>  This Inner Loop Header: Depth=2
	s_sleep 1
	global_store_dwordx2 v[6:7], v[2:3], off
	v_mov_b32_e32 v0, s6
	v_mov_b32_e32 v1, s7
	s_waitcnt vmcnt(0)
	global_atomic_cmpswap_x2 v[0:1], v39, v[0:3], s[34:35] offset:32 glc
	s_waitcnt vmcnt(0)
	v_cmp_eq_u64_e32 vcc, v[0:1], v[2:3]
	v_mov_b32_e32 v3, v1
	s_or_b64 s[12:13], vcc, s[12:13]
	v_mov_b32_e32 v2, v0
	s_andn2_b64 exec, exec, s[12:13]
	s_cbranch_execnz .LBB5_1619
.LBB5_1620:                             ;   in Loop: Header=BB5_1608 Depth=1
	s_or_b64 exec, exec, s[10:11]
	global_load_dwordx2 v[0:1], v39, s[34:35] offset:16
	s_mov_b64 s[12:13], exec
	v_mbcnt_lo_u32_b32 v2, s12, 0
	v_mbcnt_hi_u32_b32 v2, s13, v2
	v_cmp_eq_u32_e32 vcc, 0, v2
	s_and_saveexec_b64 s[10:11], vcc
	s_cbranch_execz .LBB5_1622
; %bb.1621:                             ;   in Loop: Header=BB5_1608 Depth=1
	s_bcnt1_i32_b64 s12, s[12:13]
	v_mov_b32_e32 v2, s12
	v_mov_b32_e32 v3, v39
	s_waitcnt vmcnt(0)
	global_atomic_add_x2 v[0:1], v[2:3], off offset:8
.LBB5_1622:                             ;   in Loop: Header=BB5_1608 Depth=1
	s_or_b64 exec, exec, s[10:11]
	s_waitcnt vmcnt(0)
	global_load_dwordx2 v[2:3], v[0:1], off offset:16
	s_waitcnt vmcnt(0)
	v_cmp_eq_u64_e32 vcc, 0, v[2:3]
	s_cbranch_vccnz .LBB5_1624
; %bb.1623:                             ;   in Loop: Header=BB5_1608 Depth=1
	global_load_dword v0, v[0:1], off offset:24
	v_mov_b32_e32 v1, v39
	s_waitcnt vmcnt(0)
	v_readfirstlane_b32 s10, v0
	s_and_b32 m0, s10, 0xffffff
	global_store_dwordx2 v[2:3], v[0:1], off
	s_sendmsg sendmsg(MSG_INTERRUPT)
.LBB5_1624:                             ;   in Loop: Header=BB5_1608 Depth=1
	s_or_b64 exec, exec, s[8:9]
	v_add_co_u32_e32 v0, vcc, v8, v44
	v_addc_co_u32_e32 v1, vcc, 0, v9, vcc
	s_branch .LBB5_1628
.LBB5_1625:                             ;   in Loop: Header=BB5_1628 Depth=2
	s_or_b64 exec, exec, s[8:9]
	v_readfirstlane_b32 s8, v2
	s_cmp_eq_u32 s8, 0
	s_cbranch_scc1 .LBB5_1627
; %bb.1626:                             ;   in Loop: Header=BB5_1628 Depth=2
	s_sleep 1
	s_cbranch_execnz .LBB5_1628
	s_branch .LBB5_1630
.LBB5_1627:                             ;   in Loop: Header=BB5_1608 Depth=1
	s_branch .LBB5_1630
.LBB5_1628:                             ;   Parent Loop BB5_1608 Depth=1
                                        ; =>  This Inner Loop Header: Depth=2
	v_mov_b32_e32 v2, 1
	s_and_saveexec_b64 s[8:9], s[4:5]
	s_cbranch_execz .LBB5_1625
; %bb.1629:                             ;   in Loop: Header=BB5_1628 Depth=2
	global_load_dword v2, v[4:5], off offset:20 glc
	s_waitcnt vmcnt(0)
	buffer_wbinvl1_vol
	v_and_b32_e32 v2, 1, v2
	s_branch .LBB5_1625
.LBB5_1630:                             ;   in Loop: Header=BB5_1608 Depth=1
	global_load_dwordx2 v[0:1], v[0:1], off
	s_and_saveexec_b64 s[8:9], s[4:5]
	s_cbranch_execz .LBB5_1634
; %bb.1631:                             ;   in Loop: Header=BB5_1608 Depth=1
	global_load_dwordx2 v[2:3], v39, s[34:35] offset:40
	global_load_dwordx2 v[10:11], v39, s[34:35] offset:24 glc
	global_load_dwordx2 v[4:5], v39, s[34:35]
	s_waitcnt vmcnt(2)
	v_readfirstlane_b32 s10, v2
	v_readfirstlane_b32 s11, v3
	s_add_u32 s12, s10, 1
	s_addc_u32 s13, s11, 0
	s_add_u32 s4, s12, s6
	s_addc_u32 s5, s13, s7
	s_cmp_eq_u64 s[4:5], 0
	s_cselect_b32 s5, s13, s5
	s_cselect_b32 s4, s12, s4
	s_and_b64 s[6:7], s[4:5], s[10:11]
	s_mul_i32 s7, s7, 24
	s_mul_hi_u32 s10, s6, 24
	s_mul_i32 s6, s6, 24
	s_add_i32 s7, s10, s7
	v_mov_b32_e32 v2, s7
	s_waitcnt vmcnt(0)
	v_add_co_u32_e32 v6, vcc, s6, v4
	v_addc_co_u32_e32 v7, vcc, v5, v2, vcc
	v_mov_b32_e32 v8, s4
	global_store_dwordx2 v[6:7], v[10:11], off
	v_mov_b32_e32 v9, s5
	s_waitcnt vmcnt(0)
	global_atomic_cmpswap_x2 v[4:5], v39, v[8:11], s[34:35] offset:24 glc
	s_waitcnt vmcnt(0)
	v_cmp_ne_u64_e32 vcc, v[4:5], v[10:11]
	s_and_b64 exec, exec, vcc
	s_cbranch_execz .LBB5_1634
; %bb.1632:                             ;   in Loop: Header=BB5_1608 Depth=1
	s_mov_b64 s[6:7], 0
.LBB5_1633:                             ;   Parent Loop BB5_1608 Depth=1
                                        ; =>  This Inner Loop Header: Depth=2
	s_sleep 1
	global_store_dwordx2 v[6:7], v[4:5], off
	v_mov_b32_e32 v2, s4
	v_mov_b32_e32 v3, s5
	s_waitcnt vmcnt(0)
	global_atomic_cmpswap_x2 v[2:3], v39, v[2:5], s[34:35] offset:24 glc
	s_waitcnt vmcnt(0)
	v_cmp_eq_u64_e32 vcc, v[2:3], v[4:5]
	v_mov_b32_e32 v5, v3
	s_or_b64 s[6:7], vcc, s[6:7]
	v_mov_b32_e32 v4, v2
	s_andn2_b64 exec, exec, s[6:7]
	s_cbranch_execnz .LBB5_1633
.LBB5_1634:                             ;   in Loop: Header=BB5_1608 Depth=1
	s_or_b64 exec, exec, s[8:9]
	s_add_u32 s8, s26, 0x48
	s_addc_u32 s9, s27, 0
	s_getpc_b64 s[4:5]
	s_add_u32 s4, s4, .str.2@rel32@lo+4
	s_addc_u32 s5, s5, .str.2@rel32@hi+12
	s_getpc_b64 s[6:7]
	s_add_u32 s6, s6, __ockl_printf_append_string_n@rel32@lo+4
	s_addc_u32 s7, s7, __ockl_printf_append_string_n@rel32@hi+12
	v_mov_b32_e32 v2, s4
	v_mov_b32_e32 v3, s5
	;; [unrolled: 1-line block ×5, first 2 shown]
	s_swappc_b64 s[30:31], s[6:7]
	v_readfirstlane_b32 s4, v45
	v_mov_b32_e32 v2, 0
	v_mov_b32_e32 v3, 0
	v_cmp_eq_u32_e64 s[4:5], s4, v45
	s_and_saveexec_b64 s[6:7], s[4:5]
	s_cbranch_execz .LBB5_1640
; %bb.1635:                             ;   in Loop: Header=BB5_1608 Depth=1
	global_load_dwordx2 v[4:5], v39, s[34:35] offset:24 glc
	s_waitcnt vmcnt(0)
	buffer_wbinvl1_vol
	global_load_dwordx2 v[2:3], v39, s[34:35] offset:40
	global_load_dwordx2 v[6:7], v39, s[34:35]
	s_waitcnt vmcnt(1)
	v_and_b32_e32 v2, v2, v4
	v_and_b32_e32 v3, v3, v5
	v_mul_lo_u32 v3, v3, 24
	v_mul_hi_u32 v8, v2, 24
	v_mul_lo_u32 v2, v2, 24
	v_add_u32_e32 v3, v8, v3
	s_waitcnt vmcnt(0)
	v_add_co_u32_e32 v2, vcc, v6, v2
	v_addc_co_u32_e32 v3, vcc, v7, v3, vcc
	global_load_dwordx2 v[2:3], v[2:3], off glc
	s_waitcnt vmcnt(0)
	global_atomic_cmpswap_x2 v[2:3], v39, v[2:5], s[34:35] offset:24 glc
	s_waitcnt vmcnt(0)
	buffer_wbinvl1_vol
	v_cmp_ne_u64_e32 vcc, v[2:3], v[4:5]
	s_and_saveexec_b64 s[8:9], vcc
	s_cbranch_execz .LBB5_1639
; %bb.1636:                             ;   in Loop: Header=BB5_1608 Depth=1
	s_mov_b64 s[10:11], 0
.LBB5_1637:                             ;   Parent Loop BB5_1608 Depth=1
                                        ; =>  This Inner Loop Header: Depth=2
	s_sleep 1
	global_load_dwordx2 v[6:7], v39, s[34:35] offset:40
	global_load_dwordx2 v[8:9], v39, s[34:35]
	v_mov_b32_e32 v5, v3
	v_mov_b32_e32 v4, v2
	s_waitcnt vmcnt(1)
	v_and_b32_e32 v2, v6, v4
	s_waitcnt vmcnt(0)
	v_mad_u64_u32 v[2:3], s[12:13], v2, 24, v[8:9]
	v_and_b32_e32 v6, v7, v5
	v_mad_u64_u32 v[6:7], s[12:13], v6, 24, v[3:4]
	v_mov_b32_e32 v3, v6
	global_load_dwordx2 v[2:3], v[2:3], off glc
	s_waitcnt vmcnt(0)
	global_atomic_cmpswap_x2 v[2:3], v39, v[2:5], s[34:35] offset:24 glc
	s_waitcnt vmcnt(0)
	buffer_wbinvl1_vol
	v_cmp_eq_u64_e32 vcc, v[2:3], v[4:5]
	s_or_b64 s[10:11], vcc, s[10:11]
	s_andn2_b64 exec, exec, s[10:11]
	s_cbranch_execnz .LBB5_1637
; %bb.1638:                             ;   in Loop: Header=BB5_1608 Depth=1
	s_or_b64 exec, exec, s[10:11]
.LBB5_1639:                             ;   in Loop: Header=BB5_1608 Depth=1
	s_or_b64 exec, exec, s[8:9]
.LBB5_1640:                             ;   in Loop: Header=BB5_1608 Depth=1
	s_or_b64 exec, exec, s[6:7]
	global_load_dwordx2 v[8:9], v39, s[34:35] offset:40
	global_load_dwordx4 v[4:7], v39, s[34:35]
	v_readfirstlane_b32 s7, v3
	v_readfirstlane_b32 s6, v2
	s_mov_b64 s[8:9], exec
	s_waitcnt vmcnt(1)
	v_readfirstlane_b32 s10, v8
	v_readfirstlane_b32 s11, v9
	s_and_b64 s[10:11], s[10:11], s[6:7]
	s_mul_i32 s12, s11, 24
	s_mul_hi_u32 s13, s10, 24
	s_mul_i32 s14, s10, 24
	s_add_i32 s12, s13, s12
	v_mov_b32_e32 v2, s12
	s_waitcnt vmcnt(0)
	v_add_co_u32_e32 v8, vcc, s14, v4
	v_addc_co_u32_e32 v9, vcc, v5, v2, vcc
	s_and_saveexec_b64 s[12:13], s[4:5]
	s_cbranch_execz .LBB5_1642
; %bb.1641:                             ;   in Loop: Header=BB5_1608 Depth=1
	v_mov_b32_e32 v41, s9
	v_mov_b32_e32 v40, s8
	global_store_dwordx4 v[8:9], v[40:43], off offset:8
.LBB5_1642:                             ;   in Loop: Header=BB5_1608 Depth=1
	s_or_b64 exec, exec, s[12:13]
	s_lshl_b64 s[8:9], s[10:11], 12
	v_mov_b32_e32 v2, s9
	v_add_co_u32_e32 v6, vcc, s8, v6
	v_addc_co_u32_e32 v7, vcc, v7, v2, vcc
	v_add_u32_e32 v2, s50, v37
	v_and_or_b32 v0, v0, s54, 34
	v_mov_b32_e32 v3, v39
	v_readfirstlane_b32 s8, v6
	v_readfirstlane_b32 s9, v7
	s_nop 4
	global_store_dwordx4 v44, v[0:3], s[8:9]
	s_nop 0
	v_mov_b32_e32 v0, s44
	v_mov_b32_e32 v1, s45
	;; [unrolled: 1-line block ×4, first 2 shown]
	global_store_dwordx4 v44, v[0:3], s[8:9] offset:16
	global_store_dwordx4 v44, v[0:3], s[8:9] offset:32
	;; [unrolled: 1-line block ×3, first 2 shown]
	s_and_saveexec_b64 s[8:9], s[4:5]
	s_cbranch_execz .LBB5_1650
; %bb.1643:                             ;   in Loop: Header=BB5_1608 Depth=1
	global_load_dwordx2 v[12:13], v39, s[34:35] offset:32 glc
	global_load_dwordx2 v[0:1], v39, s[34:35] offset:40
	v_mov_b32_e32 v10, s6
	v_mov_b32_e32 v11, s7
	s_waitcnt vmcnt(0)
	v_readfirstlane_b32 s10, v0
	v_readfirstlane_b32 s11, v1
	s_and_b64 s[10:11], s[10:11], s[6:7]
	s_mul_i32 s11, s11, 24
	s_mul_hi_u32 s12, s10, 24
	s_mul_i32 s10, s10, 24
	s_add_i32 s11, s12, s11
	v_mov_b32_e32 v0, s11
	v_add_co_u32_e32 v4, vcc, s10, v4
	v_addc_co_u32_e32 v5, vcc, v5, v0, vcc
	global_store_dwordx2 v[4:5], v[12:13], off
	s_waitcnt vmcnt(0)
	global_atomic_cmpswap_x2 v[2:3], v39, v[10:13], s[34:35] offset:32 glc
	s_waitcnt vmcnt(0)
	v_cmp_ne_u64_e32 vcc, v[2:3], v[12:13]
	s_and_saveexec_b64 s[10:11], vcc
	s_cbranch_execz .LBB5_1646
; %bb.1644:                             ;   in Loop: Header=BB5_1608 Depth=1
	s_mov_b64 s[12:13], 0
.LBB5_1645:                             ;   Parent Loop BB5_1608 Depth=1
                                        ; =>  This Inner Loop Header: Depth=2
	s_sleep 1
	global_store_dwordx2 v[4:5], v[2:3], off
	v_mov_b32_e32 v0, s6
	v_mov_b32_e32 v1, s7
	s_waitcnt vmcnt(0)
	global_atomic_cmpswap_x2 v[0:1], v39, v[0:3], s[34:35] offset:32 glc
	s_waitcnt vmcnt(0)
	v_cmp_eq_u64_e32 vcc, v[0:1], v[2:3]
	v_mov_b32_e32 v3, v1
	s_or_b64 s[12:13], vcc, s[12:13]
	v_mov_b32_e32 v2, v0
	s_andn2_b64 exec, exec, s[12:13]
	s_cbranch_execnz .LBB5_1645
.LBB5_1646:                             ;   in Loop: Header=BB5_1608 Depth=1
	s_or_b64 exec, exec, s[10:11]
	global_load_dwordx2 v[0:1], v39, s[34:35] offset:16
	s_mov_b64 s[12:13], exec
	v_mbcnt_lo_u32_b32 v2, s12, 0
	v_mbcnt_hi_u32_b32 v2, s13, v2
	v_cmp_eq_u32_e32 vcc, 0, v2
	s_and_saveexec_b64 s[10:11], vcc
	s_cbranch_execz .LBB5_1648
; %bb.1647:                             ;   in Loop: Header=BB5_1608 Depth=1
	s_bcnt1_i32_b64 s12, s[12:13]
	v_mov_b32_e32 v2, s12
	v_mov_b32_e32 v3, v39
	s_waitcnt vmcnt(0)
	global_atomic_add_x2 v[0:1], v[2:3], off offset:8
.LBB5_1648:                             ;   in Loop: Header=BB5_1608 Depth=1
	s_or_b64 exec, exec, s[10:11]
	s_waitcnt vmcnt(0)
	global_load_dwordx2 v[2:3], v[0:1], off offset:16
	s_waitcnt vmcnt(0)
	v_cmp_eq_u64_e32 vcc, 0, v[2:3]
	s_cbranch_vccnz .LBB5_1650
; %bb.1649:                             ;   in Loop: Header=BB5_1608 Depth=1
	global_load_dword v0, v[0:1], off offset:24
	v_mov_b32_e32 v1, v39
	s_waitcnt vmcnt(0)
	v_readfirstlane_b32 s10, v0
	s_and_b32 m0, s10, 0xffffff
	global_store_dwordx2 v[2:3], v[0:1], off
	s_sendmsg sendmsg(MSG_INTERRUPT)
.LBB5_1650:                             ;   in Loop: Header=BB5_1608 Depth=1
	s_or_b64 exec, exec, s[8:9]
	s_branch .LBB5_1654
.LBB5_1651:                             ;   in Loop: Header=BB5_1654 Depth=2
	s_or_b64 exec, exec, s[8:9]
	v_readfirstlane_b32 s8, v0
	s_cmp_eq_u32 s8, 0
	s_cbranch_scc1 .LBB5_1653
; %bb.1652:                             ;   in Loop: Header=BB5_1654 Depth=2
	s_sleep 1
	s_cbranch_execnz .LBB5_1654
	s_branch .LBB5_1656
.LBB5_1653:                             ;   in Loop: Header=BB5_1608 Depth=1
	s_branch .LBB5_1656
.LBB5_1654:                             ;   Parent Loop BB5_1608 Depth=1
                                        ; =>  This Inner Loop Header: Depth=2
	v_mov_b32_e32 v0, 1
	s_and_saveexec_b64 s[8:9], s[4:5]
	s_cbranch_execz .LBB5_1651
; %bb.1655:                             ;   in Loop: Header=BB5_1654 Depth=2
	global_load_dword v0, v[8:9], off offset:20 glc
	s_waitcnt vmcnt(0)
	buffer_wbinvl1_vol
	v_and_b32_e32 v0, 1, v0
	s_branch .LBB5_1651
.LBB5_1656:                             ;   in Loop: Header=BB5_1608 Depth=1
	s_and_saveexec_b64 s[8:9], s[4:5]
	s_cbranch_execz .LBB5_1660
; %bb.1657:                             ;   in Loop: Header=BB5_1608 Depth=1
	global_load_dwordx2 v[0:1], v39, s[34:35] offset:40
	global_load_dwordx2 v[8:9], v39, s[34:35] offset:24 glc
	global_load_dwordx2 v[2:3], v39, s[34:35]
	s_waitcnt vmcnt(2)
	v_readfirstlane_b32 s10, v0
	v_readfirstlane_b32 s11, v1
	s_add_u32 s12, s10, 1
	s_addc_u32 s13, s11, 0
	s_add_u32 s4, s12, s6
	s_addc_u32 s5, s13, s7
	s_cmp_eq_u64 s[4:5], 0
	s_cselect_b32 s5, s13, s5
	s_cselect_b32 s4, s12, s4
	s_and_b64 s[6:7], s[4:5], s[10:11]
	s_mul_i32 s7, s7, 24
	s_mul_hi_u32 s10, s6, 24
	s_mul_i32 s6, s6, 24
	s_add_i32 s7, s10, s7
	v_mov_b32_e32 v0, s7
	s_waitcnt vmcnt(0)
	v_add_co_u32_e32 v4, vcc, s6, v2
	v_addc_co_u32_e32 v5, vcc, v3, v0, vcc
	v_mov_b32_e32 v6, s4
	global_store_dwordx2 v[4:5], v[8:9], off
	v_mov_b32_e32 v7, s5
	s_waitcnt vmcnt(0)
	global_atomic_cmpswap_x2 v[2:3], v39, v[6:9], s[34:35] offset:24 glc
	s_waitcnt vmcnt(0)
	v_cmp_ne_u64_e32 vcc, v[2:3], v[8:9]
	s_and_b64 exec, exec, vcc
	s_cbranch_execz .LBB5_1660
; %bb.1658:                             ;   in Loop: Header=BB5_1608 Depth=1
	s_mov_b64 s[6:7], 0
.LBB5_1659:                             ;   Parent Loop BB5_1608 Depth=1
                                        ; =>  This Inner Loop Header: Depth=2
	s_sleep 1
	global_store_dwordx2 v[4:5], v[2:3], off
	v_mov_b32_e32 v0, s4
	v_mov_b32_e32 v1, s5
	s_waitcnt vmcnt(0)
	global_atomic_cmpswap_x2 v[0:1], v39, v[0:3], s[34:35] offset:24 glc
	s_waitcnt vmcnt(0)
	v_cmp_eq_u64_e32 vcc, v[0:1], v[2:3]
	v_mov_b32_e32 v3, v1
	s_or_b64 s[6:7], vcc, s[6:7]
	v_mov_b32_e32 v2, v0
	s_andn2_b64 exec, exec, s[6:7]
	s_cbranch_execnz .LBB5_1659
.LBB5_1660:                             ;   in Loop: Header=BB5_1608 Depth=1
	s_or_b64 exec, exec, s[8:9]
	s_lshl_b64 s[4:5], s[50:51], 2
	s_add_u32 s4, s48, s4
	s_addc_u32 s5, s49, s5
	global_load_dword v0, v39, s[4:5]
	s_getpc_b64 s[4:5]
	s_add_u32 s4, s4, .str.5@rel32@lo+4
	s_addc_u32 s5, s5, .str.5@rel32@hi+12
	s_getpc_b64 s[6:7]
	s_add_u32 s6, s6, .str.4@rel32@lo+4
	s_addc_u32 s7, s7, .str.4@rel32@hi+12
	s_waitcnt vmcnt(0)
	v_readfirstlane_b32 s28, v0
	s_and_b32 s8, s28, 1
	s_cmp_eq_u32 s8, 0
	s_cselect_b32 s53, s5, s7
	s_cselect_b32 s52, s4, s6
	s_add_u32 s18, s26, 0x48
	s_addc_u32 s19, s27, 0
	s_getpc_b64 s[4:5]
	s_add_u32 s4, s4, __ockl_printf_begin@rel32@lo+4
	s_addc_u32 s5, s5, __ockl_printf_begin@rel32@hi+12
	s_mov_b64 s[8:9], s[18:19]
	s_swappc_b64 s[30:31], s[4:5]
	s_getpc_b64 s[4:5]
	s_add_u32 s4, s4, .str.9@rel32@lo+4
	s_addc_u32 s5, s5, .str.9@rel32@hi+12
	s_getpc_b64 s[6:7]
	s_add_u32 s6, s6, __ockl_printf_append_string_n@rel32@lo+4
	s_addc_u32 s7, s7, __ockl_printf_append_string_n@rel32@hi+12
	s_mov_b64 s[8:9], s[18:19]
	v_mov_b32_e32 v2, s4
	v_mov_b32_e32 v3, s5
	;; [unrolled: 1-line block ×5, first 2 shown]
	s_swappc_b64 s[30:31], s[6:7]
	s_cmp_eq_u64 s[52:53], 0
	s_mov_b64 s[4:5], 0
	s_cbranch_scc1 .LBB5_1607
; %bb.1661:                             ;   in Loop: Header=BB5_1608 Depth=1
	s_add_u32 s4, s52, -1
	s_addc_u32 s5, s53, -1
.LBB5_1662:                             ;   Parent Loop BB5_1608 Depth=1
                                        ; =>  This Inner Loop Header: Depth=2
	global_load_ubyte v2, v39, s[4:5] offset:1
	s_add_u32 s6, s4, 1
	s_addc_u32 s7, s5, 0
	s_mov_b64 s[4:5], s[6:7]
	s_waitcnt vmcnt(0)
	v_cmp_ne_u32_e32 vcc, 0, v2
	s_cbranch_vccnz .LBB5_1662
; %bb.1663:                             ;   in Loop: Header=BB5_1608 Depth=1
	s_sub_u32 s4, s6, s52
	s_subb_u32 s5, s7, s53
	s_add_u32 s4, s4, 1
	s_addc_u32 s5, s5, 0
	s_branch .LBB5_1607
.LBB5_1664:
	v_mov_b32_e32 v0, 0
	global_load_dword v38, v0, s[36:37]
.LBB5_1665:
	v_mov_b32_e32 v6, 0
	global_load_dword v40, v6, s[38:39]
	global_load_dword v39, v6, s[42:43]
	v_readfirstlane_b32 s4, v45
	v_mov_b32_e32 v4, 0
	v_mov_b32_e32 v5, 0
	v_cmp_eq_u32_e64 s[4:5], s4, v45
	s_and_saveexec_b64 s[6:7], s[4:5]
	s_cbranch_execz .LBB5_1671
; %bb.1666:
	global_load_dwordx2 v[2:3], v6, s[34:35] offset:24 glc
	s_waitcnt vmcnt(0)
	buffer_wbinvl1_vol
	global_load_dwordx2 v[0:1], v6, s[34:35] offset:40
	global_load_dwordx2 v[4:5], v6, s[34:35]
	s_waitcnt vmcnt(1)
	v_and_b32_e32 v0, v0, v2
	v_and_b32_e32 v1, v1, v3
	v_mul_lo_u32 v1, v1, 24
	v_mul_hi_u32 v7, v0, 24
	v_mul_lo_u32 v0, v0, 24
	v_add_u32_e32 v1, v7, v1
	s_waitcnt vmcnt(0)
	v_add_co_u32_e32 v0, vcc, v4, v0
	v_addc_co_u32_e32 v1, vcc, v5, v1, vcc
	global_load_dwordx2 v[0:1], v[0:1], off glc
	s_waitcnt vmcnt(0)
	global_atomic_cmpswap_x2 v[4:5], v6, v[0:3], s[34:35] offset:24 glc
	s_waitcnt vmcnt(0)
	buffer_wbinvl1_vol
	v_cmp_ne_u64_e32 vcc, v[4:5], v[2:3]
	s_and_saveexec_b64 s[8:9], vcc
	s_cbranch_execz .LBB5_1670
; %bb.1667:
	s_mov_b64 s[10:11], 0
	v_mov_b32_e32 v0, 0
.LBB5_1668:                             ; =>This Inner Loop Header: Depth=1
	s_sleep 1
	global_load_dwordx2 v[1:2], v0, s[34:35] offset:40
	global_load_dwordx2 v[7:8], v0, s[34:35]
	v_mov_b32_e32 v10, v5
	v_mov_b32_e32 v9, v4
	s_waitcnt vmcnt(1)
	v_and_b32_e32 v1, v1, v9
	s_waitcnt vmcnt(0)
	v_mad_u64_u32 v[3:4], s[12:13], v1, 24, v[7:8]
	v_and_b32_e32 v2, v2, v10
	v_mov_b32_e32 v1, v4
	v_mad_u64_u32 v[1:2], s[12:13], v2, 24, v[1:2]
	v_mov_b32_e32 v4, v1
	global_load_dwordx2 v[7:8], v[3:4], off glc
	s_waitcnt vmcnt(0)
	global_atomic_cmpswap_x2 v[4:5], v0, v[7:10], s[34:35] offset:24 glc
	s_waitcnt vmcnt(0)
	buffer_wbinvl1_vol
	v_cmp_eq_u64_e32 vcc, v[4:5], v[9:10]
	s_or_b64 s[10:11], vcc, s[10:11]
	s_andn2_b64 exec, exec, s[10:11]
	s_cbranch_execnz .LBB5_1668
; %bb.1669:
	s_or_b64 exec, exec, s[10:11]
.LBB5_1670:
	s_or_b64 exec, exec, s[8:9]
.LBB5_1671:
	s_or_b64 exec, exec, s[6:7]
	global_load_dwordx2 v[7:8], v6, s[34:35] offset:40
	global_load_dwordx4 v[0:3], v6, s[34:35]
	v_readfirstlane_b32 s7, v5
	v_readfirstlane_b32 s6, v4
	s_mov_b64 s[8:9], exec
	s_waitcnt vmcnt(1)
	v_readfirstlane_b32 s10, v7
	v_readfirstlane_b32 s11, v8
	s_and_b64 s[10:11], s[10:11], s[6:7]
	s_mul_i32 s12, s11, 24
	s_mul_hi_u32 s13, s10, 24
	s_mul_i32 s14, s10, 24
	s_add_i32 s12, s13, s12
	v_mov_b32_e32 v4, s12
	s_waitcnt vmcnt(0)
	v_add_co_u32_e32 v6, vcc, s14, v0
	v_addc_co_u32_e32 v7, vcc, v1, v4, vcc
	s_and_saveexec_b64 s[12:13], s[4:5]
	s_cbranch_execz .LBB5_1673
; %bb.1672:
	v_mov_b32_e32 v8, s8
	v_mov_b32_e32 v9, s9
	;; [unrolled: 1-line block ×4, first 2 shown]
	global_store_dwordx4 v[6:7], v[8:11], off offset:8
.LBB5_1673:
	s_or_b64 exec, exec, s[12:13]
	s_lshl_b64 s[8:9], s[10:11], 12
	v_mov_b32_e32 v4, s9
	v_add_co_u32_e32 v10, vcc, s8, v2
	v_addc_co_u32_e32 v11, vcc, v3, v4, vcc
	s_mov_b32 s8, 0
	v_add_co_u32_e32 v8, vcc, v10, v44
	s_mov_b32 s11, s8
	v_mov_b32_e32 v3, 0
	v_addc_co_u32_e32 v9, vcc, 0, v11, vcc
	v_readfirstlane_b32 s12, v10
	v_readfirstlane_b32 s13, v11
	s_mov_b32 s9, s8
	s_mov_b32 s10, s8
	v_mov_b32_e32 v13, s11
	v_mov_b32_e32 v2, 33
	;; [unrolled: 1-line block ×7, first 2 shown]
	global_store_dwordx4 v44, v[2:5], s[12:13]
	global_store_dwordx4 v44, v[10:13], s[12:13] offset:16
	global_store_dwordx4 v44, v[10:13], s[12:13] offset:32
	;; [unrolled: 1-line block ×3, first 2 shown]
	s_and_saveexec_b64 s[8:9], s[4:5]
	s_cbranch_execz .LBB5_1681
; %bb.1674:
	global_load_dwordx2 v[12:13], v3, s[34:35] offset:32 glc
	global_load_dwordx2 v[4:5], v3, s[34:35] offset:40
	v_mov_b32_e32 v10, s6
	v_mov_b32_e32 v11, s7
	s_waitcnt vmcnt(0)
	v_readfirstlane_b32 s10, v4
	v_readfirstlane_b32 s11, v5
	s_and_b64 s[10:11], s[10:11], s[6:7]
	s_mul_i32 s11, s11, 24
	s_mul_hi_u32 s12, s10, 24
	s_mul_i32 s10, s10, 24
	s_add_i32 s11, s12, s11
	v_mov_b32_e32 v2, s11
	v_add_co_u32_e32 v4, vcc, s10, v0
	v_addc_co_u32_e32 v5, vcc, v1, v2, vcc
	global_store_dwordx2 v[4:5], v[12:13], off
	s_waitcnt vmcnt(0)
	global_atomic_cmpswap_x2 v[2:3], v3, v[10:13], s[34:35] offset:32 glc
	s_waitcnt vmcnt(0)
	v_cmp_ne_u64_e32 vcc, v[2:3], v[12:13]
	s_and_saveexec_b64 s[10:11], vcc
	s_cbranch_execz .LBB5_1677
; %bb.1675:
	s_mov_b64 s[12:13], 0
	v_mov_b32_e32 v10, 0
.LBB5_1676:                             ; =>This Inner Loop Header: Depth=1
	s_sleep 1
	global_store_dwordx2 v[4:5], v[2:3], off
	v_mov_b32_e32 v0, s6
	v_mov_b32_e32 v1, s7
	s_waitcnt vmcnt(0)
	global_atomic_cmpswap_x2 v[0:1], v10, v[0:3], s[34:35] offset:32 glc
	s_waitcnt vmcnt(0)
	v_cmp_eq_u64_e32 vcc, v[0:1], v[2:3]
	v_mov_b32_e32 v3, v1
	s_or_b64 s[12:13], vcc, s[12:13]
	v_mov_b32_e32 v2, v0
	s_andn2_b64 exec, exec, s[12:13]
	s_cbranch_execnz .LBB5_1676
.LBB5_1677:
	s_or_b64 exec, exec, s[10:11]
	v_mov_b32_e32 v3, 0
	global_load_dwordx2 v[0:1], v3, s[34:35] offset:16
	s_mov_b64 s[10:11], exec
	v_mbcnt_lo_u32_b32 v2, s10, 0
	v_mbcnt_hi_u32_b32 v2, s11, v2
	v_cmp_eq_u32_e32 vcc, 0, v2
	s_and_saveexec_b64 s[12:13], vcc
	s_cbranch_execz .LBB5_1679
; %bb.1678:
	s_bcnt1_i32_b64 s10, s[10:11]
	v_mov_b32_e32 v2, s10
	s_waitcnt vmcnt(0)
	global_atomic_add_x2 v[0:1], v[2:3], off offset:8
.LBB5_1679:
	s_or_b64 exec, exec, s[12:13]
	s_waitcnt vmcnt(0)
	global_load_dwordx2 v[2:3], v[0:1], off offset:16
	s_waitcnt vmcnt(0)
	v_cmp_eq_u64_e32 vcc, 0, v[2:3]
	s_cbranch_vccnz .LBB5_1681
; %bb.1680:
	global_load_dword v0, v[0:1], off offset:24
	v_mov_b32_e32 v1, 0
	s_waitcnt vmcnt(0)
	v_readfirstlane_b32 s10, v0
	s_and_b32 m0, s10, 0xffffff
	global_store_dwordx2 v[2:3], v[0:1], off
	s_sendmsg sendmsg(MSG_INTERRUPT)
.LBB5_1681:
	s_or_b64 exec, exec, s[8:9]
	s_branch .LBB5_1685
.LBB5_1682:                             ;   in Loop: Header=BB5_1685 Depth=1
	s_or_b64 exec, exec, s[8:9]
	v_readfirstlane_b32 s8, v0
	s_cmp_eq_u32 s8, 0
	s_cbranch_scc1 .LBB5_1684
; %bb.1683:                             ;   in Loop: Header=BB5_1685 Depth=1
	s_sleep 1
	s_cbranch_execnz .LBB5_1685
	s_branch .LBB5_1687
.LBB5_1684:
	s_branch .LBB5_1687
.LBB5_1685:                             ; =>This Inner Loop Header: Depth=1
	v_mov_b32_e32 v0, 1
	s_and_saveexec_b64 s[8:9], s[4:5]
	s_cbranch_execz .LBB5_1682
; %bb.1686:                             ;   in Loop: Header=BB5_1685 Depth=1
	global_load_dword v0, v[6:7], off offset:20 glc
	s_waitcnt vmcnt(0)
	buffer_wbinvl1_vol
	v_and_b32_e32 v0, 1, v0
	s_branch .LBB5_1682
.LBB5_1687:
	global_load_dwordx2 v[0:1], v[8:9], off
	s_and_saveexec_b64 s[8:9], s[4:5]
	s_cbranch_execz .LBB5_1690
; %bb.1688:
	v_mov_b32_e32 v8, 0
	global_load_dwordx2 v[2:3], v8, s[34:35] offset:40
	global_load_dwordx2 v[11:12], v8, s[34:35] offset:24 glc
	global_load_dwordx2 v[4:5], v8, s[34:35]
	s_waitcnt vmcnt(2)
	v_readfirstlane_b32 s10, v2
	v_readfirstlane_b32 s11, v3
	s_add_u32 s12, s10, 1
	s_addc_u32 s13, s11, 0
	s_add_u32 s4, s12, s6
	s_addc_u32 s5, s13, s7
	s_cmp_eq_u64 s[4:5], 0
	s_cselect_b32 s5, s13, s5
	s_cselect_b32 s4, s12, s4
	s_and_b64 s[6:7], s[4:5], s[10:11]
	s_mul_i32 s7, s7, 24
	s_mul_hi_u32 s10, s6, 24
	s_mul_i32 s6, s6, 24
	s_add_i32 s7, s10, s7
	v_mov_b32_e32 v2, s7
	s_waitcnt vmcnt(0)
	v_add_co_u32_e32 v6, vcc, s6, v4
	v_addc_co_u32_e32 v7, vcc, v5, v2, vcc
	v_mov_b32_e32 v9, s4
	global_store_dwordx2 v[6:7], v[11:12], off
	v_mov_b32_e32 v10, s5
	s_waitcnt vmcnt(0)
	global_atomic_cmpswap_x2 v[4:5], v8, v[9:12], s[34:35] offset:24 glc
	s_mov_b64 s[6:7], 0
	s_waitcnt vmcnt(0)
	v_cmp_ne_u64_e32 vcc, v[4:5], v[11:12]
	s_and_b64 exec, exec, vcc
	s_cbranch_execz .LBB5_1690
.LBB5_1689:                             ; =>This Inner Loop Header: Depth=1
	s_sleep 1
	global_store_dwordx2 v[6:7], v[4:5], off
	v_mov_b32_e32 v2, s4
	v_mov_b32_e32 v3, s5
	s_waitcnt vmcnt(0)
	global_atomic_cmpswap_x2 v[2:3], v8, v[2:5], s[34:35] offset:24 glc
	s_waitcnt vmcnt(0)
	v_cmp_eq_u64_e32 vcc, v[2:3], v[4:5]
	v_mov_b32_e32 v5, v3
	s_or_b64 s[6:7], vcc, s[6:7]
	v_mov_b32_e32 v4, v2
	s_andn2_b64 exec, exec, s[6:7]
	s_cbranch_execnz .LBB5_1689
.LBB5_1690:
	s_or_b64 exec, exec, s[8:9]
	s_getpc_b64 s[4:5]
	s_add_u32 s4, s4, .str.10@rel32@lo+4
	s_addc_u32 s5, s5, .str.10@rel32@hi+12
	s_cmp_lg_u64 s[4:5], 0
	s_cselect_b32 s10, 42, 0
	s_add_u32 s26, s26, 0x48
	s_addc_u32 s27, s27, 0
	s_getpc_b64 s[6:7]
	s_add_u32 s6, s6, __ockl_printf_append_string_n@rel32@lo+4
	s_addc_u32 s7, s7, __ockl_printf_append_string_n@rel32@hi+12
	s_mov_b64 s[8:9], s[26:27]
	v_mov_b32_e32 v2, s4
	v_mov_b32_e32 v3, s5
	v_mov_b32_e32 v4, s10
	v_mov_b32_e32 v5, 0
	v_mov_b32_e32 v6, 0
	s_swappc_b64 s[30:31], s[6:7]
	s_getpc_b64 s[18:19]
	s_add_u32 s18, s18, __ockl_printf_append_args@rel32@lo+4
	s_addc_u32 s19, s19, __ockl_printf_append_args@rel32@hi+12
	s_mov_b64 s[8:9], s[26:27]
	v_mov_b32_e32 v2, v38
	v_mov_b32_e32 v3, 0
	v_mov_b32_e32 v4, 0
	s_swappc_b64 s[30:31], s[18:19]
	s_mov_b64 s[8:9], s[26:27]
	v_mov_b32_e32 v2, v40
	v_mov_b32_e32 v3, 0
	v_mov_b32_e32 v4, 0
	s_swappc_b64 s[30:31], s[18:19]
	;; [unrolled: 5-line block ×4, first 2 shown]
	s_endpgm
	.section	.rodata,"a",@progbits
	.p2align	6, 0x0
	.amdhsa_kernel _Z16showDeviceKernelPiS_S_S_S_S_S_S_S_
		.amdhsa_group_segment_fixed_size 0
		.amdhsa_private_segment_fixed_size 0
		.amdhsa_kernarg_size 328
		.amdhsa_user_sgpr_count 6
		.amdhsa_user_sgpr_private_segment_buffer 1
		.amdhsa_user_sgpr_dispatch_ptr 0
		.amdhsa_user_sgpr_queue_ptr 0
		.amdhsa_user_sgpr_kernarg_segment_ptr 1
		.amdhsa_user_sgpr_dispatch_id 0
		.amdhsa_user_sgpr_flat_scratch_init 0
		.amdhsa_user_sgpr_private_segment_size 0
		.amdhsa_uses_dynamic_stack 0
		.amdhsa_system_sgpr_private_segment_wavefront_offset 0
		.amdhsa_system_sgpr_workgroup_id_x 1
		.amdhsa_system_sgpr_workgroup_id_y 0
		.amdhsa_system_sgpr_workgroup_id_z 0
		.amdhsa_system_sgpr_workgroup_info 0
		.amdhsa_system_vgpr_workitem_id 0
		.amdhsa_next_free_vgpr 46
		.amdhsa_next_free_sgpr 63
		.amdhsa_reserve_vcc 1
		.amdhsa_reserve_flat_scratch 0
		.amdhsa_float_round_mode_32 0
		.amdhsa_float_round_mode_16_64 0
		.amdhsa_float_denorm_mode_32 3
		.amdhsa_float_denorm_mode_16_64 3
		.amdhsa_dx10_clamp 1
		.amdhsa_ieee_mode 1
		.amdhsa_fp16_overflow 0
		.amdhsa_exception_fp_ieee_invalid_op 0
		.amdhsa_exception_fp_denorm_src 0
		.amdhsa_exception_fp_ieee_div_zero 0
		.amdhsa_exception_fp_ieee_overflow 0
		.amdhsa_exception_fp_ieee_underflow 0
		.amdhsa_exception_fp_ieee_inexact 0
		.amdhsa_exception_int_div_zero 0
	.end_amdhsa_kernel
	.text
.Lfunc_end5:
	.size	_Z16showDeviceKernelPiS_S_S_S_S_S_S_S_, .Lfunc_end5-_Z16showDeviceKernelPiS_S_S_S_S_S_S_S_
                                        ; -- End function
	.set _Z16showDeviceKernelPiS_S_S_S_S_S_S_S_.num_vgpr, max(46, .L__ockl_printf_append_string_n.num_vgpr, .L__ockl_printf_append_args.num_vgpr, .L__ockl_printf_begin.num_vgpr)
	.set _Z16showDeviceKernelPiS_S_S_S_S_S_S_S_.num_agpr, max(0, .L__ockl_printf_append_string_n.num_agpr, .L__ockl_printf_append_args.num_agpr, .L__ockl_printf_begin.num_agpr)
	.set _Z16showDeviceKernelPiS_S_S_S_S_S_S_S_.numbered_sgpr, max(63, .L__ockl_printf_append_string_n.numbered_sgpr, .L__ockl_printf_append_args.numbered_sgpr, .L__ockl_printf_begin.numbered_sgpr)
	.set _Z16showDeviceKernelPiS_S_S_S_S_S_S_S_.num_named_barrier, max(0, .L__ockl_printf_append_string_n.num_named_barrier, .L__ockl_printf_append_args.num_named_barrier, .L__ockl_printf_begin.num_named_barrier)
	.set _Z16showDeviceKernelPiS_S_S_S_S_S_S_S_.private_seg_size, 0+max(.L__ockl_printf_append_string_n.private_seg_size, .L__ockl_printf_append_args.private_seg_size, .L__ockl_printf_begin.private_seg_size)
	.set _Z16showDeviceKernelPiS_S_S_S_S_S_S_S_.uses_vcc, or(1, .L__ockl_printf_append_string_n.uses_vcc, .L__ockl_printf_append_args.uses_vcc, .L__ockl_printf_begin.uses_vcc)
	.set _Z16showDeviceKernelPiS_S_S_S_S_S_S_S_.uses_flat_scratch, or(0, .L__ockl_printf_append_string_n.uses_flat_scratch, .L__ockl_printf_append_args.uses_flat_scratch, .L__ockl_printf_begin.uses_flat_scratch)
	.set _Z16showDeviceKernelPiS_S_S_S_S_S_S_S_.has_dyn_sized_stack, or(0, .L__ockl_printf_append_string_n.has_dyn_sized_stack, .L__ockl_printf_append_args.has_dyn_sized_stack, .L__ockl_printf_begin.has_dyn_sized_stack)
	.set _Z16showDeviceKernelPiS_S_S_S_S_S_S_S_.has_recursion, or(0, .L__ockl_printf_append_string_n.has_recursion, .L__ockl_printf_append_args.has_recursion, .L__ockl_printf_begin.has_recursion)
	.set _Z16showDeviceKernelPiS_S_S_S_S_S_S_S_.has_indirect_call, or(0, .L__ockl_printf_append_string_n.has_indirect_call, .L__ockl_printf_append_args.has_indirect_call, .L__ockl_printf_begin.has_indirect_call)
	.section	.AMDGPU.csdata,"",@progbits
; Kernel info:
; codeLenInByte = 56456
; TotalNumSgprs: 67
; NumVgprs: 46
; ScratchSize: 0
; MemoryBound: 0
; FloatMode: 240
; IeeeMode: 1
; LDSByteSize: 0 bytes/workgroup (compile time only)
; SGPRBlocks: 8
; VGPRBlocks: 11
; NumSGPRsForWavesPerEU: 67
; NumVGPRsForWavesPerEU: 46
; Occupancy: 5
; WaveLimiterHint : 1
; COMPUTE_PGM_RSRC2:SCRATCH_EN: 0
; COMPUTE_PGM_RSRC2:USER_SGPR: 6
; COMPUTE_PGM_RSRC2:TRAP_HANDLER: 0
; COMPUTE_PGM_RSRC2:TGID_X_EN: 1
; COMPUTE_PGM_RSRC2:TGID_Y_EN: 0
; COMPUTE_PGM_RSRC2:TGID_Z_EN: 0
; COMPUTE_PGM_RSRC2:TIDIG_COMP_CNT: 0
	.text
	.protected	_Z16printStatsKernelPKiS0_S0_ ; -- Begin function _Z16printStatsKernelPKiS0_S0_
	.globl	_Z16printStatsKernelPKiS0_S0_
	.p2align	8
	.type	_Z16printStatsKernelPKiS0_S0_,@function
_Z16printStatsKernelPKiS0_S0_:          ; @_Z16printStatsKernelPKiS0_S0_
; %bb.0:
	s_load_dwordx4 s[8:11], s[4:5], 0x0
	s_load_dwordx2 s[0:1], s[4:5], 0x10
	s_load_dwordx2 s[2:3], s[4:5], 0x68
	v_mbcnt_lo_u32_b32 v0, -1, 0
	v_mbcnt_hi_u32_b32 v30, -1, v0
	v_mov_b32_e32 v5, 0
	s_waitcnt lgkmcnt(0)
	s_load_dword s20, s[8:9], 0x0
	s_load_dword s19, s[10:11], 0x0
	;; [unrolled: 1-line block ×3, first 2 shown]
	v_readfirstlane_b32 s0, v30
	v_mov_b32_e32 v6, 0
	v_cmp_eq_u32_e64 s[0:1], s0, v30
	s_and_saveexec_b64 s[4:5], s[0:1]
	s_cbranch_execz .LBB6_6
; %bb.1:
	v_mov_b32_e32 v0, 0
	global_load_dwordx2 v[3:4], v0, s[2:3] offset:24 glc
	s_waitcnt vmcnt(0)
	buffer_wbinvl1_vol
	global_load_dwordx2 v[1:2], v0, s[2:3] offset:40
	global_load_dwordx2 v[5:6], v0, s[2:3]
	s_waitcnt vmcnt(1)
	v_and_b32_e32 v1, v1, v3
	v_and_b32_e32 v2, v2, v4
	v_mul_lo_u32 v2, v2, 24
	v_mul_hi_u32 v7, v1, 24
	v_mul_lo_u32 v1, v1, 24
	v_add_u32_e32 v2, v7, v2
	s_waitcnt vmcnt(0)
	v_add_co_u32_e32 v1, vcc, v5, v1
	v_addc_co_u32_e32 v2, vcc, v6, v2, vcc
	global_load_dwordx2 v[1:2], v[1:2], off glc
	s_waitcnt vmcnt(0)
	global_atomic_cmpswap_x2 v[5:6], v0, v[1:4], s[2:3] offset:24 glc
	s_waitcnt vmcnt(0)
	buffer_wbinvl1_vol
	v_cmp_ne_u64_e32 vcc, v[5:6], v[3:4]
	s_and_saveexec_b64 s[6:7], vcc
	s_cbranch_execz .LBB6_5
; %bb.2:
	s_mov_b64 s[8:9], 0
.LBB6_3:                                ; =>This Inner Loop Header: Depth=1
	s_sleep 1
	global_load_dwordx2 v[1:2], v0, s[2:3] offset:40
	global_load_dwordx2 v[7:8], v0, s[2:3]
	v_mov_b32_e32 v3, v5
	v_mov_b32_e32 v4, v6
	s_waitcnt vmcnt(1)
	v_and_b32_e32 v1, v1, v3
	s_waitcnt vmcnt(0)
	v_mad_u64_u32 v[5:6], s[10:11], v1, 24, v[7:8]
	v_and_b32_e32 v2, v2, v4
	v_mov_b32_e32 v1, v6
	v_mad_u64_u32 v[1:2], s[10:11], v2, 24, v[1:2]
	v_mov_b32_e32 v6, v1
	global_load_dwordx2 v[1:2], v[5:6], off glc
	s_waitcnt vmcnt(0)
	global_atomic_cmpswap_x2 v[5:6], v0, v[1:4], s[2:3] offset:24 glc
	s_waitcnt vmcnt(0)
	buffer_wbinvl1_vol
	v_cmp_eq_u64_e32 vcc, v[5:6], v[3:4]
	s_or_b64 s[8:9], vcc, s[8:9]
	s_andn2_b64 exec, exec, s[8:9]
	s_cbranch_execnz .LBB6_3
; %bb.4:
	s_or_b64 exec, exec, s[8:9]
.LBB6_5:
	s_or_b64 exec, exec, s[6:7]
.LBB6_6:
	s_or_b64 exec, exec, s[4:5]
	v_mov_b32_e32 v4, 0
	global_load_dwordx2 v[7:8], v4, s[2:3] offset:40
	global_load_dwordx4 v[0:3], v4, s[2:3]
	v_readfirstlane_b32 s5, v6
	v_readfirstlane_b32 s4, v5
	s_mov_b64 s[6:7], exec
	s_waitcnt vmcnt(1)
	v_readfirstlane_b32 s8, v7
	v_readfirstlane_b32 s9, v8
	s_and_b64 s[8:9], s[8:9], s[4:5]
	s_mul_i32 s10, s9, 24
	s_mul_hi_u32 s11, s8, 24
	s_mul_i32 s12, s8, 24
	s_add_i32 s10, s11, s10
	v_mov_b32_e32 v5, s10
	s_waitcnt vmcnt(0)
	v_add_co_u32_e32 v7, vcc, s12, v0
	v_addc_co_u32_e32 v8, vcc, v1, v5, vcc
	s_and_saveexec_b64 s[10:11], s[0:1]
	s_cbranch_execz .LBB6_8
; %bb.7:
	v_mov_b32_e32 v10, s7
	v_mov_b32_e32 v9, s6
	;; [unrolled: 1-line block ×4, first 2 shown]
	global_store_dwordx4 v[7:8], v[9:12], off offset:8
.LBB6_8:
	s_or_b64 exec, exec, s[10:11]
	s_lshl_b64 s[6:7], s[8:9], 12
	v_mov_b32_e32 v5, s7
	v_add_co_u32_e32 v2, vcc, s6, v2
	v_addc_co_u32_e32 v11, vcc, v3, v5, vcc
	v_lshlrev_b32_e32 v29, 6, v30
	s_mov_b32 s8, 0
	v_mov_b32_e32 v3, 33
	v_mov_b32_e32 v5, v4
	;; [unrolled: 1-line block ×3, first 2 shown]
	v_readfirstlane_b32 s6, v2
	v_readfirstlane_b32 s7, v11
	v_add_co_u32_e32 v9, vcc, v2, v29
	s_mov_b32 s9, s8
	s_mov_b32 s10, s8
	;; [unrolled: 1-line block ×3, first 2 shown]
	s_nop 0
	global_store_dwordx4 v29, v[3:6], s[6:7]
	v_mov_b32_e32 v2, s8
	v_addc_co_u32_e32 v10, vcc, 0, v11, vcc
	v_mov_b32_e32 v3, s9
	v_mov_b32_e32 v4, s10
	;; [unrolled: 1-line block ×3, first 2 shown]
	global_store_dwordx4 v29, v[2:5], s[6:7] offset:16
	global_store_dwordx4 v29, v[2:5], s[6:7] offset:32
	;; [unrolled: 1-line block ×3, first 2 shown]
	s_and_saveexec_b64 s[6:7], s[0:1]
	s_cbranch_execz .LBB6_16
; %bb.9:
	v_mov_b32_e32 v6, 0
	global_load_dwordx2 v[13:14], v6, s[2:3] offset:32 glc
	global_load_dwordx2 v[2:3], v6, s[2:3] offset:40
	v_mov_b32_e32 v11, s4
	v_mov_b32_e32 v12, s5
	s_waitcnt vmcnt(0)
	v_and_b32_e32 v2, s4, v2
	v_and_b32_e32 v3, s5, v3
	v_mul_lo_u32 v3, v3, 24
	v_mul_hi_u32 v4, v2, 24
	v_mul_lo_u32 v2, v2, 24
	v_add_u32_e32 v3, v4, v3
	v_add_co_u32_e32 v4, vcc, v0, v2
	v_addc_co_u32_e32 v5, vcc, v1, v3, vcc
	global_store_dwordx2 v[4:5], v[13:14], off
	s_waitcnt vmcnt(0)
	global_atomic_cmpswap_x2 v[2:3], v6, v[11:14], s[2:3] offset:32 glc
	s_waitcnt vmcnt(0)
	v_cmp_ne_u64_e32 vcc, v[2:3], v[13:14]
	s_and_saveexec_b64 s[8:9], vcc
	s_cbranch_execz .LBB6_12
; %bb.10:
	s_mov_b64 s[10:11], 0
.LBB6_11:                               ; =>This Inner Loop Header: Depth=1
	s_sleep 1
	global_store_dwordx2 v[4:5], v[2:3], off
	v_mov_b32_e32 v0, s4
	v_mov_b32_e32 v1, s5
	s_waitcnt vmcnt(0)
	global_atomic_cmpswap_x2 v[0:1], v6, v[0:3], s[2:3] offset:32 glc
	s_waitcnt vmcnt(0)
	v_cmp_eq_u64_e32 vcc, v[0:1], v[2:3]
	v_mov_b32_e32 v3, v1
	s_or_b64 s[10:11], vcc, s[10:11]
	v_mov_b32_e32 v2, v0
	s_andn2_b64 exec, exec, s[10:11]
	s_cbranch_execnz .LBB6_11
.LBB6_12:
	s_or_b64 exec, exec, s[8:9]
	v_mov_b32_e32 v3, 0
	global_load_dwordx2 v[0:1], v3, s[2:3] offset:16
	s_mov_b64 s[8:9], exec
	v_mbcnt_lo_u32_b32 v2, s8, 0
	v_mbcnt_hi_u32_b32 v2, s9, v2
	v_cmp_eq_u32_e32 vcc, 0, v2
	s_and_saveexec_b64 s[10:11], vcc
	s_cbranch_execz .LBB6_14
; %bb.13:
	s_bcnt1_i32_b64 s8, s[8:9]
	v_mov_b32_e32 v2, s8
	s_waitcnt vmcnt(0)
	global_atomic_add_x2 v[0:1], v[2:3], off offset:8
.LBB6_14:
	s_or_b64 exec, exec, s[10:11]
	s_waitcnt vmcnt(0)
	global_load_dwordx2 v[2:3], v[0:1], off offset:16
	s_waitcnt vmcnt(0)
	v_cmp_eq_u64_e32 vcc, 0, v[2:3]
	s_cbranch_vccnz .LBB6_16
; %bb.15:
	global_load_dword v0, v[0:1], off offset:24
	v_mov_b32_e32 v1, 0
	s_waitcnt vmcnt(0)
	v_readfirstlane_b32 s8, v0
	s_and_b32 m0, s8, 0xffffff
	global_store_dwordx2 v[2:3], v[0:1], off
	s_sendmsg sendmsg(MSG_INTERRUPT)
.LBB6_16:
	s_or_b64 exec, exec, s[6:7]
	s_branch .LBB6_20
.LBB6_17:                               ;   in Loop: Header=BB6_20 Depth=1
	s_or_b64 exec, exec, s[6:7]
	v_readfirstlane_b32 s6, v0
	s_cmp_eq_u32 s6, 0
	s_cbranch_scc1 .LBB6_19
; %bb.18:                               ;   in Loop: Header=BB6_20 Depth=1
	s_sleep 1
	s_cbranch_execnz .LBB6_20
	s_branch .LBB6_22
.LBB6_19:
	s_branch .LBB6_22
.LBB6_20:                               ; =>This Inner Loop Header: Depth=1
	v_mov_b32_e32 v0, 1
	s_and_saveexec_b64 s[6:7], s[0:1]
	s_cbranch_execz .LBB6_17
; %bb.21:                               ;   in Loop: Header=BB6_20 Depth=1
	global_load_dword v0, v[7:8], off offset:20 glc
	s_waitcnt vmcnt(0)
	buffer_wbinvl1_vol
	v_and_b32_e32 v0, 1, v0
	s_branch .LBB6_17
.LBB6_22:
	global_load_dwordx2 v[0:1], v[9:10], off
	s_and_saveexec_b64 s[6:7], s[0:1]
	s_cbranch_execz .LBB6_25
; %bb.23:
	v_mov_b32_e32 v8, 0
	global_load_dwordx2 v[2:3], v8, s[2:3] offset:40
	global_load_dwordx2 v[11:12], v8, s[2:3] offset:24 glc
	global_load_dwordx2 v[4:5], v8, s[2:3]
	s_waitcnt vmcnt(2)
	v_readfirstlane_b32 s8, v2
	v_readfirstlane_b32 s9, v3
	s_add_u32 s10, s8, 1
	s_addc_u32 s11, s9, 0
	s_add_u32 s0, s10, s4
	s_addc_u32 s1, s11, s5
	s_cmp_eq_u64 s[0:1], 0
	s_cselect_b32 s1, s11, s1
	s_cselect_b32 s0, s10, s0
	s_and_b64 s[4:5], s[0:1], s[8:9]
	s_mul_i32 s5, s5, 24
	s_mul_hi_u32 s8, s4, 24
	s_mul_i32 s4, s4, 24
	s_add_i32 s5, s8, s5
	v_mov_b32_e32 v2, s5
	s_waitcnt vmcnt(0)
	v_add_co_u32_e32 v6, vcc, s4, v4
	v_addc_co_u32_e32 v7, vcc, v5, v2, vcc
	v_mov_b32_e32 v9, s0
	global_store_dwordx2 v[6:7], v[11:12], off
	v_mov_b32_e32 v10, s1
	s_waitcnt vmcnt(0)
	global_atomic_cmpswap_x2 v[4:5], v8, v[9:12], s[2:3] offset:24 glc
	s_mov_b64 s[4:5], 0
	s_waitcnt vmcnt(0)
	v_cmp_ne_u64_e32 vcc, v[4:5], v[11:12]
	s_and_b64 exec, exec, vcc
	s_cbranch_execz .LBB6_25
.LBB6_24:                               ; =>This Inner Loop Header: Depth=1
	s_sleep 1
	global_store_dwordx2 v[6:7], v[4:5], off
	v_mov_b32_e32 v2, s0
	v_mov_b32_e32 v3, s1
	s_waitcnt vmcnt(0)
	global_atomic_cmpswap_x2 v[2:3], v8, v[2:5], s[2:3] offset:24 glc
	s_waitcnt vmcnt(0)
	v_cmp_eq_u64_e32 vcc, v[2:3], v[4:5]
	v_mov_b32_e32 v5, v3
	s_or_b64 s[4:5], vcc, s[4:5]
	v_mov_b32_e32 v4, v2
	s_andn2_b64 exec, exec, s[4:5]
	s_cbranch_execnz .LBB6_24
.LBB6_25:
	s_or_b64 exec, exec, s[6:7]
	s_getpc_b64 s[4:5]
	s_add_u32 s4, s4, .str.11@rel32@lo+4
	s_addc_u32 s5, s5, .str.11@rel32@hi+12
	s_cmp_lg_u64 s[4:5], 0
	s_cbranch_scc0 .LBB6_111
; %bb.26:
	s_waitcnt vmcnt(0)
	v_and_b32_e32 v31, 2, v0
	v_mov_b32_e32 v26, 0
	v_and_b32_e32 v2, -3, v0
	v_mov_b32_e32 v3, v1
	s_mov_b64 s[6:7], 32
	v_mov_b32_e32 v8, 2
	v_mov_b32_e32 v9, 1
	s_branch .LBB6_28
.LBB6_27:                               ;   in Loop: Header=BB6_28 Depth=1
	s_or_b64 exec, exec, s[12:13]
	s_sub_u32 s6, s6, s8
	s_subb_u32 s7, s7, s9
	s_add_u32 s4, s4, s8
	s_addc_u32 s5, s5, s9
	s_cmp_lg_u64 s[6:7], 0
	s_cbranch_scc0 .LBB6_110
.LBB6_28:                               ; =>This Loop Header: Depth=1
                                        ;     Child Loop BB6_31 Depth 2
                                        ;     Child Loop BB6_39 Depth 2
	;; [unrolled: 1-line block ×11, first 2 shown]
	v_cmp_lt_u64_e64 s[0:1], s[6:7], 56
	v_cmp_gt_u64_e64 s[10:11], s[6:7], 7
	s_and_b64 s[0:1], s[0:1], exec
	s_cselect_b32 s9, s7, 0
	s_cselect_b32 s8, s6, 56
	s_add_u32 s0, s4, 8
	s_addc_u32 s1, s5, 0
	s_and_b64 vcc, exec, s[10:11]
	s_cbranch_vccnz .LBB6_32
; %bb.29:                               ;   in Loop: Header=BB6_28 Depth=1
	s_cmp_eq_u64 s[6:7], 0
	s_cbranch_scc1 .LBB6_33
; %bb.30:                               ;   in Loop: Header=BB6_28 Depth=1
	v_mov_b32_e32 v4, 0
	s_lshl_b64 s[0:1], s[8:9], 3
	s_mov_b64 s[10:11], 0
	v_mov_b32_e32 v5, 0
	s_mov_b64 s[12:13], s[4:5]
.LBB6_31:                               ;   Parent Loop BB6_28 Depth=1
                                        ; =>  This Inner Loop Header: Depth=2
	global_load_ubyte v6, v26, s[12:13]
	s_waitcnt vmcnt(0)
	v_and_b32_e32 v25, 0xffff, v6
	v_lshlrev_b64 v[6:7], s10, v[25:26]
	s_add_u32 s10, s10, 8
	s_addc_u32 s11, s11, 0
	s_add_u32 s12, s12, 1
	s_addc_u32 s13, s13, 0
	v_or_b32_e32 v4, v6, v4
	s_cmp_lg_u32 s0, s10
	v_or_b32_e32 v5, v7, v5
	s_cbranch_scc1 .LBB6_31
	s_branch .LBB6_34
.LBB6_32:                               ;   in Loop: Header=BB6_28 Depth=1
	s_mov_b32 s14, 0
	s_branch .LBB6_35
.LBB6_33:                               ;   in Loop: Header=BB6_28 Depth=1
	v_mov_b32_e32 v4, 0
	v_mov_b32_e32 v5, 0
.LBB6_34:                               ;   in Loop: Header=BB6_28 Depth=1
	s_mov_b64 s[0:1], s[4:5]
	s_mov_b32 s14, 0
	s_cbranch_execnz .LBB6_36
.LBB6_35:                               ;   in Loop: Header=BB6_28 Depth=1
	global_load_dwordx2 v[4:5], v26, s[4:5]
	s_add_i32 s14, s8, -8
.LBB6_36:                               ;   in Loop: Header=BB6_28 Depth=1
	s_add_u32 s10, s0, 8
	s_addc_u32 s11, s1, 0
	s_cmp_gt_u32 s14, 7
	s_cbranch_scc1 .LBB6_40
; %bb.37:                               ;   in Loop: Header=BB6_28 Depth=1
	s_cmp_eq_u32 s14, 0
	s_cbranch_scc1 .LBB6_41
; %bb.38:                               ;   in Loop: Header=BB6_28 Depth=1
	v_mov_b32_e32 v10, 0
	s_mov_b64 s[10:11], 0
	v_mov_b32_e32 v11, 0
	s_mov_b64 s[12:13], 0
.LBB6_39:                               ;   Parent Loop BB6_28 Depth=1
                                        ; =>  This Inner Loop Header: Depth=2
	s_add_u32 s16, s0, s12
	s_addc_u32 s17, s1, s13
	global_load_ubyte v6, v26, s[16:17]
	s_add_u32 s12, s12, 1
	s_addc_u32 s13, s13, 0
	s_waitcnt vmcnt(0)
	v_and_b32_e32 v25, 0xffff, v6
	v_lshlrev_b64 v[6:7], s10, v[25:26]
	s_add_u32 s10, s10, 8
	s_addc_u32 s11, s11, 0
	v_or_b32_e32 v10, v6, v10
	s_cmp_lg_u32 s14, s12
	v_or_b32_e32 v11, v7, v11
	s_cbranch_scc1 .LBB6_39
	s_branch .LBB6_42
.LBB6_40:                               ;   in Loop: Header=BB6_28 Depth=1
                                        ; implicit-def: $vgpr10_vgpr11
	s_mov_b32 s15, 0
	s_branch .LBB6_43
.LBB6_41:                               ;   in Loop: Header=BB6_28 Depth=1
	v_mov_b32_e32 v10, 0
	v_mov_b32_e32 v11, 0
.LBB6_42:                               ;   in Loop: Header=BB6_28 Depth=1
	s_mov_b64 s[10:11], s[0:1]
	s_mov_b32 s15, 0
	s_cbranch_execnz .LBB6_44
.LBB6_43:                               ;   in Loop: Header=BB6_28 Depth=1
	global_load_dwordx2 v[10:11], v26, s[0:1]
	s_add_i32 s15, s14, -8
.LBB6_44:                               ;   in Loop: Header=BB6_28 Depth=1
	s_add_u32 s0, s10, 8
	s_addc_u32 s1, s11, 0
	s_cmp_gt_u32 s15, 7
	s_cbranch_scc1 .LBB6_48
; %bb.45:                               ;   in Loop: Header=BB6_28 Depth=1
	s_cmp_eq_u32 s15, 0
	s_cbranch_scc1 .LBB6_49
; %bb.46:                               ;   in Loop: Header=BB6_28 Depth=1
	v_mov_b32_e32 v12, 0
	s_mov_b64 s[0:1], 0
	v_mov_b32_e32 v13, 0
	s_mov_b64 s[12:13], 0
.LBB6_47:                               ;   Parent Loop BB6_28 Depth=1
                                        ; =>  This Inner Loop Header: Depth=2
	s_add_u32 s16, s10, s12
	s_addc_u32 s17, s11, s13
	global_load_ubyte v6, v26, s[16:17]
	s_add_u32 s12, s12, 1
	s_addc_u32 s13, s13, 0
	s_waitcnt vmcnt(0)
	v_and_b32_e32 v25, 0xffff, v6
	v_lshlrev_b64 v[6:7], s0, v[25:26]
	s_add_u32 s0, s0, 8
	s_addc_u32 s1, s1, 0
	v_or_b32_e32 v12, v6, v12
	s_cmp_lg_u32 s15, s12
	v_or_b32_e32 v13, v7, v13
	s_cbranch_scc1 .LBB6_47
	s_branch .LBB6_50
.LBB6_48:                               ;   in Loop: Header=BB6_28 Depth=1
	s_mov_b32 s14, 0
	s_branch .LBB6_51
.LBB6_49:                               ;   in Loop: Header=BB6_28 Depth=1
	v_mov_b32_e32 v12, 0
	v_mov_b32_e32 v13, 0
.LBB6_50:                               ;   in Loop: Header=BB6_28 Depth=1
	s_mov_b64 s[0:1], s[10:11]
	s_mov_b32 s14, 0
	s_cbranch_execnz .LBB6_52
.LBB6_51:                               ;   in Loop: Header=BB6_28 Depth=1
	global_load_dwordx2 v[12:13], v26, s[10:11]
	s_add_i32 s14, s15, -8
.LBB6_52:                               ;   in Loop: Header=BB6_28 Depth=1
	s_add_u32 s10, s0, 8
	s_addc_u32 s11, s1, 0
	s_cmp_gt_u32 s14, 7
	s_cbranch_scc1 .LBB6_56
; %bb.53:                               ;   in Loop: Header=BB6_28 Depth=1
	s_cmp_eq_u32 s14, 0
	s_cbranch_scc1 .LBB6_57
; %bb.54:                               ;   in Loop: Header=BB6_28 Depth=1
	v_mov_b32_e32 v14, 0
	s_mov_b64 s[10:11], 0
	v_mov_b32_e32 v15, 0
	s_mov_b64 s[12:13], 0
.LBB6_55:                               ;   Parent Loop BB6_28 Depth=1
                                        ; =>  This Inner Loop Header: Depth=2
	s_add_u32 s16, s0, s12
	s_addc_u32 s17, s1, s13
	global_load_ubyte v6, v26, s[16:17]
	s_add_u32 s12, s12, 1
	s_addc_u32 s13, s13, 0
	s_waitcnt vmcnt(0)
	v_and_b32_e32 v25, 0xffff, v6
	v_lshlrev_b64 v[6:7], s10, v[25:26]
	s_add_u32 s10, s10, 8
	s_addc_u32 s11, s11, 0
	v_or_b32_e32 v14, v6, v14
	s_cmp_lg_u32 s14, s12
	v_or_b32_e32 v15, v7, v15
	s_cbranch_scc1 .LBB6_55
	s_branch .LBB6_58
.LBB6_56:                               ;   in Loop: Header=BB6_28 Depth=1
                                        ; implicit-def: $vgpr14_vgpr15
	s_mov_b32 s15, 0
	s_branch .LBB6_59
.LBB6_57:                               ;   in Loop: Header=BB6_28 Depth=1
	v_mov_b32_e32 v14, 0
	v_mov_b32_e32 v15, 0
.LBB6_58:                               ;   in Loop: Header=BB6_28 Depth=1
	s_mov_b64 s[10:11], s[0:1]
	s_mov_b32 s15, 0
	s_cbranch_execnz .LBB6_60
.LBB6_59:                               ;   in Loop: Header=BB6_28 Depth=1
	global_load_dwordx2 v[14:15], v26, s[0:1]
	s_add_i32 s15, s14, -8
.LBB6_60:                               ;   in Loop: Header=BB6_28 Depth=1
	s_add_u32 s0, s10, 8
	s_addc_u32 s1, s11, 0
	s_cmp_gt_u32 s15, 7
	s_cbranch_scc1 .LBB6_64
; %bb.61:                               ;   in Loop: Header=BB6_28 Depth=1
	s_cmp_eq_u32 s15, 0
	s_cbranch_scc1 .LBB6_65
; %bb.62:                               ;   in Loop: Header=BB6_28 Depth=1
	v_mov_b32_e32 v16, 0
	s_mov_b64 s[0:1], 0
	v_mov_b32_e32 v17, 0
	s_mov_b64 s[12:13], 0
.LBB6_63:                               ;   Parent Loop BB6_28 Depth=1
                                        ; =>  This Inner Loop Header: Depth=2
	s_add_u32 s16, s10, s12
	s_addc_u32 s17, s11, s13
	global_load_ubyte v6, v26, s[16:17]
	s_add_u32 s12, s12, 1
	s_addc_u32 s13, s13, 0
	s_waitcnt vmcnt(0)
	v_and_b32_e32 v25, 0xffff, v6
	v_lshlrev_b64 v[6:7], s0, v[25:26]
	s_add_u32 s0, s0, 8
	s_addc_u32 s1, s1, 0
	v_or_b32_e32 v16, v6, v16
	s_cmp_lg_u32 s15, s12
	v_or_b32_e32 v17, v7, v17
	s_cbranch_scc1 .LBB6_63
	s_branch .LBB6_66
.LBB6_64:                               ;   in Loop: Header=BB6_28 Depth=1
	s_mov_b32 s14, 0
	s_branch .LBB6_67
.LBB6_65:                               ;   in Loop: Header=BB6_28 Depth=1
	v_mov_b32_e32 v16, 0
	v_mov_b32_e32 v17, 0
.LBB6_66:                               ;   in Loop: Header=BB6_28 Depth=1
	s_mov_b64 s[0:1], s[10:11]
	s_mov_b32 s14, 0
	s_cbranch_execnz .LBB6_68
.LBB6_67:                               ;   in Loop: Header=BB6_28 Depth=1
	global_load_dwordx2 v[16:17], v26, s[10:11]
	s_add_i32 s14, s15, -8
.LBB6_68:                               ;   in Loop: Header=BB6_28 Depth=1
	s_add_u32 s10, s0, 8
	s_addc_u32 s11, s1, 0
	s_cmp_gt_u32 s14, 7
	s_cbranch_scc1 .LBB6_72
; %bb.69:                               ;   in Loop: Header=BB6_28 Depth=1
	s_cmp_eq_u32 s14, 0
	s_cbranch_scc1 .LBB6_73
; %bb.70:                               ;   in Loop: Header=BB6_28 Depth=1
	v_mov_b32_e32 v18, 0
	s_mov_b64 s[10:11], 0
	v_mov_b32_e32 v19, 0
	s_mov_b64 s[12:13], 0
.LBB6_71:                               ;   Parent Loop BB6_28 Depth=1
                                        ; =>  This Inner Loop Header: Depth=2
	s_add_u32 s16, s0, s12
	s_addc_u32 s17, s1, s13
	global_load_ubyte v6, v26, s[16:17]
	s_add_u32 s12, s12, 1
	s_addc_u32 s13, s13, 0
	s_waitcnt vmcnt(0)
	v_and_b32_e32 v25, 0xffff, v6
	v_lshlrev_b64 v[6:7], s10, v[25:26]
	s_add_u32 s10, s10, 8
	s_addc_u32 s11, s11, 0
	v_or_b32_e32 v18, v6, v18
	s_cmp_lg_u32 s14, s12
	v_or_b32_e32 v19, v7, v19
	s_cbranch_scc1 .LBB6_71
	s_branch .LBB6_74
.LBB6_72:                               ;   in Loop: Header=BB6_28 Depth=1
                                        ; implicit-def: $vgpr18_vgpr19
	s_mov_b32 s15, 0
	s_branch .LBB6_75
.LBB6_73:                               ;   in Loop: Header=BB6_28 Depth=1
	v_mov_b32_e32 v18, 0
	v_mov_b32_e32 v19, 0
.LBB6_74:                               ;   in Loop: Header=BB6_28 Depth=1
	s_mov_b64 s[10:11], s[0:1]
	s_mov_b32 s15, 0
	s_cbranch_execnz .LBB6_76
.LBB6_75:                               ;   in Loop: Header=BB6_28 Depth=1
	global_load_dwordx2 v[18:19], v26, s[0:1]
	s_add_i32 s15, s14, -8
.LBB6_76:                               ;   in Loop: Header=BB6_28 Depth=1
	s_cmp_gt_u32 s15, 7
	s_cbranch_scc1 .LBB6_80
; %bb.77:                               ;   in Loop: Header=BB6_28 Depth=1
	s_cmp_eq_u32 s15, 0
	s_cbranch_scc1 .LBB6_81
; %bb.78:                               ;   in Loop: Header=BB6_28 Depth=1
	v_mov_b32_e32 v20, 0
	s_mov_b64 s[0:1], 0
	v_mov_b32_e32 v21, 0
	s_mov_b64 s[12:13], s[10:11]
.LBB6_79:                               ;   Parent Loop BB6_28 Depth=1
                                        ; =>  This Inner Loop Header: Depth=2
	global_load_ubyte v6, v26, s[12:13]
	s_add_i32 s15, s15, -1
	s_waitcnt vmcnt(0)
	v_and_b32_e32 v25, 0xffff, v6
	v_lshlrev_b64 v[6:7], s0, v[25:26]
	s_add_u32 s0, s0, 8
	s_addc_u32 s1, s1, 0
	s_add_u32 s12, s12, 1
	s_addc_u32 s13, s13, 0
	v_or_b32_e32 v20, v6, v20
	s_cmp_lg_u32 s15, 0
	v_or_b32_e32 v21, v7, v21
	s_cbranch_scc1 .LBB6_79
	s_branch .LBB6_82
.LBB6_80:                               ;   in Loop: Header=BB6_28 Depth=1
	s_branch .LBB6_83
.LBB6_81:                               ;   in Loop: Header=BB6_28 Depth=1
	v_mov_b32_e32 v20, 0
	v_mov_b32_e32 v21, 0
.LBB6_82:                               ;   in Loop: Header=BB6_28 Depth=1
	s_cbranch_execnz .LBB6_84
.LBB6_83:                               ;   in Loop: Header=BB6_28 Depth=1
	global_load_dwordx2 v[20:21], v26, s[10:11]
.LBB6_84:                               ;   in Loop: Header=BB6_28 Depth=1
	v_readfirstlane_b32 s0, v30
	v_mov_b32_e32 v6, 0
	v_mov_b32_e32 v7, 0
	v_cmp_eq_u32_e64 s[0:1], s0, v30
	s_and_saveexec_b64 s[10:11], s[0:1]
	s_cbranch_execz .LBB6_90
; %bb.85:                               ;   in Loop: Header=BB6_28 Depth=1
	global_load_dwordx2 v[24:25], v26, s[2:3] offset:24 glc
	s_waitcnt vmcnt(0)
	buffer_wbinvl1_vol
	global_load_dwordx2 v[6:7], v26, s[2:3] offset:40
	global_load_dwordx2 v[22:23], v26, s[2:3]
	s_waitcnt vmcnt(1)
	v_and_b32_e32 v6, v6, v24
	v_and_b32_e32 v7, v7, v25
	v_mul_lo_u32 v7, v7, 24
	v_mul_hi_u32 v27, v6, 24
	v_mul_lo_u32 v6, v6, 24
	v_add_u32_e32 v7, v27, v7
	s_waitcnt vmcnt(0)
	v_add_co_u32_e32 v6, vcc, v22, v6
	v_addc_co_u32_e32 v7, vcc, v23, v7, vcc
	global_load_dwordx2 v[22:23], v[6:7], off glc
	s_waitcnt vmcnt(0)
	global_atomic_cmpswap_x2 v[6:7], v26, v[22:25], s[2:3] offset:24 glc
	s_waitcnt vmcnt(0)
	buffer_wbinvl1_vol
	v_cmp_ne_u64_e32 vcc, v[6:7], v[24:25]
	s_and_saveexec_b64 s[12:13], vcc
	s_cbranch_execz .LBB6_89
; %bb.86:                               ;   in Loop: Header=BB6_28 Depth=1
	s_mov_b64 s[14:15], 0
.LBB6_87:                               ;   Parent Loop BB6_28 Depth=1
                                        ; =>  This Inner Loop Header: Depth=2
	s_sleep 1
	global_load_dwordx2 v[22:23], v26, s[2:3] offset:40
	global_load_dwordx2 v[27:28], v26, s[2:3]
	v_mov_b32_e32 v25, v7
	v_mov_b32_e32 v24, v6
	s_waitcnt vmcnt(1)
	v_and_b32_e32 v6, v22, v24
	s_waitcnt vmcnt(0)
	v_mad_u64_u32 v[6:7], s[16:17], v6, 24, v[27:28]
	v_and_b32_e32 v22, v23, v25
	v_mad_u64_u32 v[22:23], s[16:17], v22, 24, v[7:8]
	v_mov_b32_e32 v7, v22
	global_load_dwordx2 v[22:23], v[6:7], off glc
	s_waitcnt vmcnt(0)
	global_atomic_cmpswap_x2 v[6:7], v26, v[22:25], s[2:3] offset:24 glc
	s_waitcnt vmcnt(0)
	buffer_wbinvl1_vol
	v_cmp_eq_u64_e32 vcc, v[6:7], v[24:25]
	s_or_b64 s[14:15], vcc, s[14:15]
	s_andn2_b64 exec, exec, s[14:15]
	s_cbranch_execnz .LBB6_87
; %bb.88:                               ;   in Loop: Header=BB6_28 Depth=1
	s_or_b64 exec, exec, s[14:15]
.LBB6_89:                               ;   in Loop: Header=BB6_28 Depth=1
	s_or_b64 exec, exec, s[12:13]
.LBB6_90:                               ;   in Loop: Header=BB6_28 Depth=1
	s_or_b64 exec, exec, s[10:11]
	global_load_dwordx2 v[27:28], v26, s[2:3] offset:40
	global_load_dwordx4 v[22:25], v26, s[2:3]
	v_readfirstlane_b32 s11, v7
	v_readfirstlane_b32 s10, v6
	s_mov_b64 s[12:13], exec
	s_waitcnt vmcnt(1)
	v_readfirstlane_b32 s14, v27
	v_readfirstlane_b32 s15, v28
	s_and_b64 s[14:15], s[14:15], s[10:11]
	s_mul_i32 s16, s15, 24
	s_mul_hi_u32 s17, s14, 24
	s_mul_i32 s21, s14, 24
	s_add_i32 s16, s17, s16
	v_mov_b32_e32 v6, s16
	s_waitcnt vmcnt(0)
	v_add_co_u32_e32 v27, vcc, s21, v22
	v_addc_co_u32_e32 v28, vcc, v23, v6, vcc
	s_and_saveexec_b64 s[16:17], s[0:1]
	s_cbranch_execz .LBB6_92
; %bb.91:                               ;   in Loop: Header=BB6_28 Depth=1
	v_mov_b32_e32 v6, s12
	v_mov_b32_e32 v7, s13
	global_store_dwordx4 v[27:28], v[6:9], off offset:8
.LBB6_92:                               ;   in Loop: Header=BB6_28 Depth=1
	s_or_b64 exec, exec, s[16:17]
	s_lshl_b64 s[12:13], s[14:15], 12
	v_mov_b32_e32 v6, s13
	v_add_co_u32_e32 v24, vcc, s12, v24
	v_addc_co_u32_e32 v32, vcc, v25, v6, vcc
	v_cmp_lt_u64_e64 vcc, s[6:7], 57
	s_lshl_b32 s12, s8, 2
	v_cndmask_b32_e32 v6, 0, v31, vcc
	s_add_i32 s12, s12, 28
	v_and_b32_e32 v2, 0xffffff1f, v2
	s_and_b32 s12, s12, 0x1e0
	v_or_b32_e32 v2, v2, v6
	v_or_b32_e32 v2, s12, v2
	v_readfirstlane_b32 s12, v24
	v_readfirstlane_b32 s13, v32
	s_nop 4
	global_store_dwordx4 v29, v[2:5], s[12:13]
	global_store_dwordx4 v29, v[10:13], s[12:13] offset:16
	global_store_dwordx4 v29, v[14:17], s[12:13] offset:32
	;; [unrolled: 1-line block ×3, first 2 shown]
	s_and_saveexec_b64 s[12:13], s[0:1]
	s_cbranch_execz .LBB6_100
; %bb.93:                               ;   in Loop: Header=BB6_28 Depth=1
	global_load_dwordx2 v[12:13], v26, s[2:3] offset:32 glc
	global_load_dwordx2 v[2:3], v26, s[2:3] offset:40
	v_mov_b32_e32 v10, s10
	v_mov_b32_e32 v11, s11
	s_waitcnt vmcnt(0)
	v_readfirstlane_b32 s14, v2
	v_readfirstlane_b32 s15, v3
	s_and_b64 s[14:15], s[14:15], s[10:11]
	s_mul_i32 s15, s15, 24
	s_mul_hi_u32 s16, s14, 24
	s_mul_i32 s14, s14, 24
	s_add_i32 s15, s16, s15
	v_mov_b32_e32 v2, s15
	v_add_co_u32_e32 v6, vcc, s14, v22
	v_addc_co_u32_e32 v7, vcc, v23, v2, vcc
	global_store_dwordx2 v[6:7], v[12:13], off
	s_waitcnt vmcnt(0)
	global_atomic_cmpswap_x2 v[4:5], v26, v[10:13], s[2:3] offset:32 glc
	s_waitcnt vmcnt(0)
	v_cmp_ne_u64_e32 vcc, v[4:5], v[12:13]
	s_and_saveexec_b64 s[14:15], vcc
	s_cbranch_execz .LBB6_96
; %bb.94:                               ;   in Loop: Header=BB6_28 Depth=1
	s_mov_b64 s[16:17], 0
.LBB6_95:                               ;   Parent Loop BB6_28 Depth=1
                                        ; =>  This Inner Loop Header: Depth=2
	s_sleep 1
	global_store_dwordx2 v[6:7], v[4:5], off
	v_mov_b32_e32 v2, s10
	v_mov_b32_e32 v3, s11
	s_waitcnt vmcnt(0)
	global_atomic_cmpswap_x2 v[2:3], v26, v[2:5], s[2:3] offset:32 glc
	s_waitcnt vmcnt(0)
	v_cmp_eq_u64_e32 vcc, v[2:3], v[4:5]
	v_mov_b32_e32 v5, v3
	s_or_b64 s[16:17], vcc, s[16:17]
	v_mov_b32_e32 v4, v2
	s_andn2_b64 exec, exec, s[16:17]
	s_cbranch_execnz .LBB6_95
.LBB6_96:                               ;   in Loop: Header=BB6_28 Depth=1
	s_or_b64 exec, exec, s[14:15]
	global_load_dwordx2 v[2:3], v26, s[2:3] offset:16
	s_mov_b64 s[16:17], exec
	v_mbcnt_lo_u32_b32 v4, s16, 0
	v_mbcnt_hi_u32_b32 v4, s17, v4
	v_cmp_eq_u32_e32 vcc, 0, v4
	s_and_saveexec_b64 s[14:15], vcc
	s_cbranch_execz .LBB6_98
; %bb.97:                               ;   in Loop: Header=BB6_28 Depth=1
	s_bcnt1_i32_b64 s16, s[16:17]
	v_mov_b32_e32 v25, s16
	s_waitcnt vmcnt(0)
	global_atomic_add_x2 v[2:3], v[25:26], off offset:8
.LBB6_98:                               ;   in Loop: Header=BB6_28 Depth=1
	s_or_b64 exec, exec, s[14:15]
	s_waitcnt vmcnt(0)
	global_load_dwordx2 v[4:5], v[2:3], off offset:16
	s_waitcnt vmcnt(0)
	v_cmp_eq_u64_e32 vcc, 0, v[4:5]
	s_cbranch_vccnz .LBB6_100
; %bb.99:                               ;   in Loop: Header=BB6_28 Depth=1
	global_load_dword v25, v[2:3], off offset:24
	s_waitcnt vmcnt(0)
	v_readfirstlane_b32 s14, v25
	s_and_b32 m0, s14, 0xffffff
	global_store_dwordx2 v[4:5], v[25:26], off
	s_sendmsg sendmsg(MSG_INTERRUPT)
.LBB6_100:                              ;   in Loop: Header=BB6_28 Depth=1
	s_or_b64 exec, exec, s[12:13]
	v_add_co_u32_e32 v2, vcc, v24, v29
	v_addc_co_u32_e32 v3, vcc, 0, v32, vcc
	s_branch .LBB6_104
.LBB6_101:                              ;   in Loop: Header=BB6_104 Depth=2
	s_or_b64 exec, exec, s[12:13]
	v_readfirstlane_b32 s12, v4
	s_cmp_eq_u32 s12, 0
	s_cbranch_scc1 .LBB6_103
; %bb.102:                              ;   in Loop: Header=BB6_104 Depth=2
	s_sleep 1
	s_cbranch_execnz .LBB6_104
	s_branch .LBB6_106
.LBB6_103:                              ;   in Loop: Header=BB6_28 Depth=1
	s_branch .LBB6_106
.LBB6_104:                              ;   Parent Loop BB6_28 Depth=1
                                        ; =>  This Inner Loop Header: Depth=2
	v_mov_b32_e32 v4, 1
	s_and_saveexec_b64 s[12:13], s[0:1]
	s_cbranch_execz .LBB6_101
; %bb.105:                              ;   in Loop: Header=BB6_104 Depth=2
	global_load_dword v4, v[27:28], off offset:20 glc
	s_waitcnt vmcnt(0)
	buffer_wbinvl1_vol
	v_and_b32_e32 v4, 1, v4
	s_branch .LBB6_101
.LBB6_106:                              ;   in Loop: Header=BB6_28 Depth=1
	global_load_dwordx2 v[2:3], v[2:3], off
	s_and_saveexec_b64 s[12:13], s[0:1]
	s_cbranch_execz .LBB6_27
; %bb.107:                              ;   in Loop: Header=BB6_28 Depth=1
	global_load_dwordx2 v[4:5], v26, s[2:3] offset:40
	global_load_dwordx2 v[14:15], v26, s[2:3] offset:24 glc
	global_load_dwordx2 v[6:7], v26, s[2:3]
	s_waitcnt vmcnt(2)
	v_readfirstlane_b32 s14, v4
	v_readfirstlane_b32 s15, v5
	s_add_u32 s16, s14, 1
	s_addc_u32 s17, s15, 0
	s_add_u32 s0, s16, s10
	s_addc_u32 s1, s17, s11
	s_cmp_eq_u64 s[0:1], 0
	s_cselect_b32 s1, s17, s1
	s_cselect_b32 s0, s16, s0
	s_and_b64 s[10:11], s[0:1], s[14:15]
	s_mul_i32 s11, s11, 24
	s_mul_hi_u32 s14, s10, 24
	s_mul_i32 s10, s10, 24
	s_add_i32 s11, s14, s11
	v_mov_b32_e32 v4, s11
	s_waitcnt vmcnt(0)
	v_add_co_u32_e32 v10, vcc, s10, v6
	v_addc_co_u32_e32 v11, vcc, v7, v4, vcc
	v_mov_b32_e32 v12, s0
	global_store_dwordx2 v[10:11], v[14:15], off
	v_mov_b32_e32 v13, s1
	s_waitcnt vmcnt(0)
	global_atomic_cmpswap_x2 v[6:7], v26, v[12:15], s[2:3] offset:24 glc
	s_waitcnt vmcnt(0)
	v_cmp_ne_u64_e32 vcc, v[6:7], v[14:15]
	s_and_b64 exec, exec, vcc
	s_cbranch_execz .LBB6_27
; %bb.108:                              ;   in Loop: Header=BB6_28 Depth=1
	s_mov_b64 s[10:11], 0
.LBB6_109:                              ;   Parent Loop BB6_28 Depth=1
                                        ; =>  This Inner Loop Header: Depth=2
	s_sleep 1
	global_store_dwordx2 v[10:11], v[6:7], off
	v_mov_b32_e32 v4, s0
	v_mov_b32_e32 v5, s1
	s_waitcnt vmcnt(0)
	global_atomic_cmpswap_x2 v[4:5], v26, v[4:7], s[2:3] offset:24 glc
	s_waitcnt vmcnt(0)
	v_cmp_eq_u64_e32 vcc, v[4:5], v[6:7]
	v_mov_b32_e32 v7, v5
	s_or_b64 s[10:11], vcc, s[10:11]
	v_mov_b32_e32 v6, v4
	s_andn2_b64 exec, exec, s[10:11]
	s_cbranch_execnz .LBB6_109
	s_branch .LBB6_27
.LBB6_110:
	s_branch .LBB6_138
.LBB6_111:
                                        ; implicit-def: $vgpr2_vgpr3
	s_cbranch_execz .LBB6_138
; %bb.112:
	v_readfirstlane_b32 s0, v30
	v_mov_b32_e32 v8, 0
	v_mov_b32_e32 v9, 0
	v_cmp_eq_u32_e64 s[0:1], s0, v30
	s_and_saveexec_b64 s[4:5], s[0:1]
	s_cbranch_execz .LBB6_118
; %bb.113:
	s_waitcnt vmcnt(0)
	v_mov_b32_e32 v2, 0
	global_load_dwordx2 v[5:6], v2, s[2:3] offset:24 glc
	s_waitcnt vmcnt(0)
	buffer_wbinvl1_vol
	global_load_dwordx2 v[3:4], v2, s[2:3] offset:40
	global_load_dwordx2 v[7:8], v2, s[2:3]
	s_waitcnt vmcnt(1)
	v_and_b32_e32 v3, v3, v5
	v_and_b32_e32 v4, v4, v6
	v_mul_lo_u32 v4, v4, 24
	v_mul_hi_u32 v9, v3, 24
	v_mul_lo_u32 v3, v3, 24
	v_add_u32_e32 v4, v9, v4
	s_waitcnt vmcnt(0)
	v_add_co_u32_e32 v3, vcc, v7, v3
	v_addc_co_u32_e32 v4, vcc, v8, v4, vcc
	global_load_dwordx2 v[3:4], v[3:4], off glc
	s_waitcnt vmcnt(0)
	global_atomic_cmpswap_x2 v[8:9], v2, v[3:6], s[2:3] offset:24 glc
	s_waitcnt vmcnt(0)
	buffer_wbinvl1_vol
	v_cmp_ne_u64_e32 vcc, v[8:9], v[5:6]
	s_and_saveexec_b64 s[6:7], vcc
	s_cbranch_execz .LBB6_117
; %bb.114:
	s_mov_b64 s[8:9], 0
.LBB6_115:                              ; =>This Inner Loop Header: Depth=1
	s_sleep 1
	global_load_dwordx2 v[3:4], v2, s[2:3] offset:40
	global_load_dwordx2 v[10:11], v2, s[2:3]
	v_mov_b32_e32 v5, v8
	v_mov_b32_e32 v6, v9
	s_waitcnt vmcnt(1)
	v_and_b32_e32 v3, v3, v5
	s_waitcnt vmcnt(0)
	v_mad_u64_u32 v[7:8], s[10:11], v3, 24, v[10:11]
	v_and_b32_e32 v4, v4, v6
	v_mov_b32_e32 v3, v8
	v_mad_u64_u32 v[3:4], s[10:11], v4, 24, v[3:4]
	v_mov_b32_e32 v8, v3
	global_load_dwordx2 v[3:4], v[7:8], off glc
	s_waitcnt vmcnt(0)
	global_atomic_cmpswap_x2 v[8:9], v2, v[3:6], s[2:3] offset:24 glc
	s_waitcnt vmcnt(0)
	buffer_wbinvl1_vol
	v_cmp_eq_u64_e32 vcc, v[8:9], v[5:6]
	s_or_b64 s[8:9], vcc, s[8:9]
	s_andn2_b64 exec, exec, s[8:9]
	s_cbranch_execnz .LBB6_115
; %bb.116:
	s_or_b64 exec, exec, s[8:9]
.LBB6_117:
	s_or_b64 exec, exec, s[6:7]
.LBB6_118:
	s_or_b64 exec, exec, s[4:5]
	s_waitcnt vmcnt(0)
	v_mov_b32_e32 v2, 0
	global_load_dwordx2 v[10:11], v2, s[2:3] offset:40
	global_load_dwordx4 v[4:7], v2, s[2:3]
	v_readfirstlane_b32 s5, v9
	v_readfirstlane_b32 s4, v8
	s_mov_b64 s[6:7], exec
	s_waitcnt vmcnt(1)
	v_readfirstlane_b32 s8, v10
	v_readfirstlane_b32 s9, v11
	s_and_b64 s[8:9], s[8:9], s[4:5]
	s_mul_i32 s10, s9, 24
	s_mul_hi_u32 s11, s8, 24
	s_mul_i32 s12, s8, 24
	s_add_i32 s10, s11, s10
	v_mov_b32_e32 v3, s10
	s_waitcnt vmcnt(0)
	v_add_co_u32_e32 v8, vcc, s12, v4
	v_addc_co_u32_e32 v9, vcc, v5, v3, vcc
	s_and_saveexec_b64 s[10:11], s[0:1]
	s_cbranch_execz .LBB6_120
; %bb.119:
	v_mov_b32_e32 v11, s7
	v_mov_b32_e32 v10, s6
	;; [unrolled: 1-line block ×4, first 2 shown]
	global_store_dwordx4 v[8:9], v[10:13], off offset:8
.LBB6_120:
	s_or_b64 exec, exec, s[10:11]
	s_lshl_b64 s[6:7], s[8:9], 12
	v_mov_b32_e32 v3, s7
	v_add_co_u32_e32 v10, vcc, s6, v6
	v_addc_co_u32_e32 v11, vcc, v7, v3, vcc
	s_movk_i32 s6, 0xff1f
	v_and_or_b32 v0, v0, s6, 32
	s_mov_b32 s8, 0
	v_mov_b32_e32 v3, v2
	v_readfirstlane_b32 s6, v10
	v_readfirstlane_b32 s7, v11
	v_add_co_u32_e32 v6, vcc, v10, v29
	s_mov_b32 s9, s8
	s_mov_b32 s10, s8
	;; [unrolled: 1-line block ×3, first 2 shown]
	s_nop 0
	global_store_dwordx4 v29, v[0:3], s[6:7]
	v_addc_co_u32_e32 v7, vcc, 0, v11, vcc
	v_mov_b32_e32 v0, s8
	v_mov_b32_e32 v1, s9
	;; [unrolled: 1-line block ×4, first 2 shown]
	global_store_dwordx4 v29, v[0:3], s[6:7] offset:16
	global_store_dwordx4 v29, v[0:3], s[6:7] offset:32
	;; [unrolled: 1-line block ×3, first 2 shown]
	s_and_saveexec_b64 s[6:7], s[0:1]
	s_cbranch_execz .LBB6_128
; %bb.121:
	v_mov_b32_e32 v10, 0
	global_load_dwordx2 v[13:14], v10, s[2:3] offset:32 glc
	global_load_dwordx2 v[0:1], v10, s[2:3] offset:40
	v_mov_b32_e32 v11, s4
	v_mov_b32_e32 v12, s5
	s_waitcnt vmcnt(0)
	v_readfirstlane_b32 s8, v0
	v_readfirstlane_b32 s9, v1
	s_and_b64 s[8:9], s[8:9], s[4:5]
	s_mul_i32 s9, s9, 24
	s_mul_hi_u32 s10, s8, 24
	s_mul_i32 s8, s8, 24
	s_add_i32 s9, s10, s9
	v_mov_b32_e32 v0, s9
	v_add_co_u32_e32 v4, vcc, s8, v4
	v_addc_co_u32_e32 v5, vcc, v5, v0, vcc
	global_store_dwordx2 v[4:5], v[13:14], off
	s_waitcnt vmcnt(0)
	global_atomic_cmpswap_x2 v[2:3], v10, v[11:14], s[2:3] offset:32 glc
	s_waitcnt vmcnt(0)
	v_cmp_ne_u64_e32 vcc, v[2:3], v[13:14]
	s_and_saveexec_b64 s[8:9], vcc
	s_cbranch_execz .LBB6_124
; %bb.122:
	s_mov_b64 s[10:11], 0
.LBB6_123:                              ; =>This Inner Loop Header: Depth=1
	s_sleep 1
	global_store_dwordx2 v[4:5], v[2:3], off
	v_mov_b32_e32 v0, s4
	v_mov_b32_e32 v1, s5
	s_waitcnt vmcnt(0)
	global_atomic_cmpswap_x2 v[0:1], v10, v[0:3], s[2:3] offset:32 glc
	s_waitcnt vmcnt(0)
	v_cmp_eq_u64_e32 vcc, v[0:1], v[2:3]
	v_mov_b32_e32 v3, v1
	s_or_b64 s[10:11], vcc, s[10:11]
	v_mov_b32_e32 v2, v0
	s_andn2_b64 exec, exec, s[10:11]
	s_cbranch_execnz .LBB6_123
.LBB6_124:
	s_or_b64 exec, exec, s[8:9]
	v_mov_b32_e32 v3, 0
	global_load_dwordx2 v[0:1], v3, s[2:3] offset:16
	s_mov_b64 s[8:9], exec
	v_mbcnt_lo_u32_b32 v2, s8, 0
	v_mbcnt_hi_u32_b32 v2, s9, v2
	v_cmp_eq_u32_e32 vcc, 0, v2
	s_and_saveexec_b64 s[10:11], vcc
	s_cbranch_execz .LBB6_126
; %bb.125:
	s_bcnt1_i32_b64 s8, s[8:9]
	v_mov_b32_e32 v2, s8
	s_waitcnt vmcnt(0)
	global_atomic_add_x2 v[0:1], v[2:3], off offset:8
.LBB6_126:
	s_or_b64 exec, exec, s[10:11]
	s_waitcnt vmcnt(0)
	global_load_dwordx2 v[2:3], v[0:1], off offset:16
	s_waitcnt vmcnt(0)
	v_cmp_eq_u64_e32 vcc, 0, v[2:3]
	s_cbranch_vccnz .LBB6_128
; %bb.127:
	global_load_dword v0, v[0:1], off offset:24
	v_mov_b32_e32 v1, 0
	s_waitcnt vmcnt(0)
	v_readfirstlane_b32 s8, v0
	s_and_b32 m0, s8, 0xffffff
	global_store_dwordx2 v[2:3], v[0:1], off
	s_sendmsg sendmsg(MSG_INTERRUPT)
.LBB6_128:
	s_or_b64 exec, exec, s[6:7]
	s_branch .LBB6_132
.LBB6_129:                              ;   in Loop: Header=BB6_132 Depth=1
	s_or_b64 exec, exec, s[6:7]
	v_readfirstlane_b32 s6, v0
	s_cmp_eq_u32 s6, 0
	s_cbranch_scc1 .LBB6_131
; %bb.130:                              ;   in Loop: Header=BB6_132 Depth=1
	s_sleep 1
	s_cbranch_execnz .LBB6_132
	s_branch .LBB6_134
.LBB6_131:
	s_branch .LBB6_134
.LBB6_132:                              ; =>This Inner Loop Header: Depth=1
	v_mov_b32_e32 v0, 1
	s_and_saveexec_b64 s[6:7], s[0:1]
	s_cbranch_execz .LBB6_129
; %bb.133:                              ;   in Loop: Header=BB6_132 Depth=1
	global_load_dword v0, v[8:9], off offset:20 glc
	s_waitcnt vmcnt(0)
	buffer_wbinvl1_vol
	v_and_b32_e32 v0, 1, v0
	s_branch .LBB6_129
.LBB6_134:
	global_load_dwordx2 v[2:3], v[6:7], off
	s_and_saveexec_b64 s[6:7], s[0:1]
	s_cbranch_execz .LBB6_137
; %bb.135:
	v_mov_b32_e32 v8, 0
	global_load_dwordx2 v[0:1], v8, s[2:3] offset:40
	global_load_dwordx2 v[11:12], v8, s[2:3] offset:24 glc
	global_load_dwordx2 v[4:5], v8, s[2:3]
	s_waitcnt vmcnt(2)
	v_readfirstlane_b32 s8, v0
	v_readfirstlane_b32 s9, v1
	s_add_u32 s10, s8, 1
	s_addc_u32 s11, s9, 0
	s_add_u32 s0, s10, s4
	s_addc_u32 s1, s11, s5
	s_cmp_eq_u64 s[0:1], 0
	s_cselect_b32 s1, s11, s1
	s_cselect_b32 s0, s10, s0
	s_and_b64 s[4:5], s[0:1], s[8:9]
	s_mul_i32 s5, s5, 24
	s_mul_hi_u32 s8, s4, 24
	s_mul_i32 s4, s4, 24
	s_add_i32 s5, s8, s5
	v_mov_b32_e32 v1, s5
	s_waitcnt vmcnt(0)
	v_add_co_u32_e32 v0, vcc, s4, v4
	v_addc_co_u32_e32 v1, vcc, v5, v1, vcc
	v_mov_b32_e32 v9, s0
	global_store_dwordx2 v[0:1], v[11:12], off
	v_mov_b32_e32 v10, s1
	s_waitcnt vmcnt(0)
	global_atomic_cmpswap_x2 v[6:7], v8, v[9:12], s[2:3] offset:24 glc
	s_mov_b64 s[4:5], 0
	s_waitcnt vmcnt(0)
	v_cmp_ne_u64_e32 vcc, v[6:7], v[11:12]
	s_and_b64 exec, exec, vcc
	s_cbranch_execz .LBB6_137
.LBB6_136:                              ; =>This Inner Loop Header: Depth=1
	s_sleep 1
	global_store_dwordx2 v[0:1], v[6:7], off
	v_mov_b32_e32 v4, s0
	v_mov_b32_e32 v5, s1
	s_waitcnt vmcnt(0)
	global_atomic_cmpswap_x2 v[4:5], v8, v[4:7], s[2:3] offset:24 glc
	s_waitcnt vmcnt(0)
	v_cmp_eq_u64_e32 vcc, v[4:5], v[6:7]
	v_mov_b32_e32 v7, v5
	s_or_b64 s[4:5], vcc, s[4:5]
	v_mov_b32_e32 v6, v4
	s_andn2_b64 exec, exec, s[4:5]
	s_cbranch_execnz .LBB6_136
.LBB6_137:
	s_or_b64 exec, exec, s[6:7]
.LBB6_138:
	v_readfirstlane_b32 s0, v30
	s_waitcnt vmcnt(0)
	v_mov_b32_e32 v0, 0
	v_mov_b32_e32 v1, 0
	v_cmp_eq_u32_e64 s[0:1], s0, v30
	s_and_saveexec_b64 s[4:5], s[0:1]
	s_cbranch_execz .LBB6_144
; %bb.139:
	v_mov_b32_e32 v4, 0
	global_load_dwordx2 v[7:8], v4, s[2:3] offset:24 glc
	s_waitcnt vmcnt(0)
	buffer_wbinvl1_vol
	global_load_dwordx2 v[0:1], v4, s[2:3] offset:40
	global_load_dwordx2 v[5:6], v4, s[2:3]
	s_waitcnt vmcnt(1)
	v_and_b32_e32 v0, v0, v7
	v_and_b32_e32 v1, v1, v8
	v_mul_lo_u32 v1, v1, 24
	v_mul_hi_u32 v9, v0, 24
	v_mul_lo_u32 v0, v0, 24
	v_add_u32_e32 v1, v9, v1
	s_waitcnt vmcnt(0)
	v_add_co_u32_e32 v0, vcc, v5, v0
	v_addc_co_u32_e32 v1, vcc, v6, v1, vcc
	global_load_dwordx2 v[5:6], v[0:1], off glc
	s_waitcnt vmcnt(0)
	global_atomic_cmpswap_x2 v[0:1], v4, v[5:8], s[2:3] offset:24 glc
	s_waitcnt vmcnt(0)
	buffer_wbinvl1_vol
	v_cmp_ne_u64_e32 vcc, v[0:1], v[7:8]
	s_and_saveexec_b64 s[6:7], vcc
	s_cbranch_execz .LBB6_143
; %bb.140:
	s_mov_b64 s[8:9], 0
.LBB6_141:                              ; =>This Inner Loop Header: Depth=1
	s_sleep 1
	global_load_dwordx2 v[5:6], v4, s[2:3] offset:40
	global_load_dwordx2 v[9:10], v4, s[2:3]
	v_mov_b32_e32 v8, v1
	v_mov_b32_e32 v7, v0
	s_waitcnt vmcnt(1)
	v_and_b32_e32 v0, v5, v7
	s_waitcnt vmcnt(0)
	v_mad_u64_u32 v[0:1], s[10:11], v0, 24, v[9:10]
	v_and_b32_e32 v5, v6, v8
	v_mad_u64_u32 v[5:6], s[10:11], v5, 24, v[1:2]
	v_mov_b32_e32 v1, v5
	global_load_dwordx2 v[5:6], v[0:1], off glc
	s_waitcnt vmcnt(0)
	global_atomic_cmpswap_x2 v[0:1], v4, v[5:8], s[2:3] offset:24 glc
	s_waitcnt vmcnt(0)
	buffer_wbinvl1_vol
	v_cmp_eq_u64_e32 vcc, v[0:1], v[7:8]
	s_or_b64 s[8:9], vcc, s[8:9]
	s_andn2_b64 exec, exec, s[8:9]
	s_cbranch_execnz .LBB6_141
; %bb.142:
	s_or_b64 exec, exec, s[8:9]
.LBB6_143:
	s_or_b64 exec, exec, s[6:7]
.LBB6_144:
	s_or_b64 exec, exec, s[4:5]
	v_mov_b32_e32 v5, 0
	global_load_dwordx2 v[10:11], v5, s[2:3] offset:40
	global_load_dwordx4 v[6:9], v5, s[2:3]
	v_readfirstlane_b32 s5, v1
	v_readfirstlane_b32 s4, v0
	s_mov_b64 s[6:7], exec
	s_waitcnt vmcnt(1)
	v_readfirstlane_b32 s8, v10
	v_readfirstlane_b32 s9, v11
	s_and_b64 s[8:9], s[8:9], s[4:5]
	s_mul_i32 s10, s9, 24
	s_mul_hi_u32 s11, s8, 24
	s_mul_i32 s12, s8, 24
	s_add_i32 s10, s11, s10
	v_mov_b32_e32 v0, s10
	s_waitcnt vmcnt(0)
	v_add_co_u32_e32 v10, vcc, s12, v6
	v_addc_co_u32_e32 v11, vcc, v7, v0, vcc
	s_and_saveexec_b64 s[10:11], s[0:1]
	s_cbranch_execz .LBB6_146
; %bb.145:
	v_mov_b32_e32 v13, s7
	v_mov_b32_e32 v12, s6
	;; [unrolled: 1-line block ×4, first 2 shown]
	global_store_dwordx4 v[10:11], v[12:15], off offset:8
.LBB6_146:
	s_or_b64 exec, exec, s[10:11]
	s_lshl_b64 s[6:7], s[8:9], 12
	v_mov_b32_e32 v0, s7
	v_add_co_u32_e32 v1, vcc, s6, v8
	v_addc_co_u32_e32 v0, vcc, v9, v0, vcc
	s_movk_i32 s6, 0xff1f
	s_mov_b32 s8, 0
	v_and_or_b32 v2, v2, s6, 32
	v_add_co_u32_e32 v8, vcc, v1, v29
	s_waitcnt lgkmcnt(0)
	v_mov_b32_e32 v4, s20
	v_readfirstlane_b32 s6, v1
	v_readfirstlane_b32 s7, v0
	v_addc_co_u32_e32 v9, vcc, 0, v0, vcc
	s_mov_b32 s9, s8
	s_mov_b32 s10, s8
	;; [unrolled: 1-line block ×3, first 2 shown]
	s_nop 0
	global_store_dwordx4 v29, v[2:5], s[6:7]
	v_mov_b32_e32 v0, s8
	v_mov_b32_e32 v1, s9
	;; [unrolled: 1-line block ×4, first 2 shown]
	global_store_dwordx4 v29, v[0:3], s[6:7] offset:16
	global_store_dwordx4 v29, v[0:3], s[6:7] offset:32
	global_store_dwordx4 v29, v[0:3], s[6:7] offset:48
	s_and_saveexec_b64 s[6:7], s[0:1]
	s_cbranch_execz .LBB6_154
; %bb.147:
	v_mov_b32_e32 v12, 0
	global_load_dwordx2 v[15:16], v12, s[2:3] offset:32 glc
	global_load_dwordx2 v[0:1], v12, s[2:3] offset:40
	v_mov_b32_e32 v13, s4
	v_mov_b32_e32 v14, s5
	s_waitcnt vmcnt(0)
	v_readfirstlane_b32 s8, v0
	v_readfirstlane_b32 s9, v1
	s_and_b64 s[8:9], s[8:9], s[4:5]
	s_mul_i32 s9, s9, 24
	s_mul_hi_u32 s10, s8, 24
	s_mul_i32 s8, s8, 24
	s_add_i32 s9, s10, s9
	v_mov_b32_e32 v0, s9
	v_add_co_u32_e32 v4, vcc, s8, v6
	v_addc_co_u32_e32 v5, vcc, v7, v0, vcc
	global_store_dwordx2 v[4:5], v[15:16], off
	s_waitcnt vmcnt(0)
	global_atomic_cmpswap_x2 v[2:3], v12, v[13:16], s[2:3] offset:32 glc
	s_waitcnt vmcnt(0)
	v_cmp_ne_u64_e32 vcc, v[2:3], v[15:16]
	s_and_saveexec_b64 s[8:9], vcc
	s_cbranch_execz .LBB6_150
; %bb.148:
	s_mov_b64 s[10:11], 0
.LBB6_149:                              ; =>This Inner Loop Header: Depth=1
	s_sleep 1
	global_store_dwordx2 v[4:5], v[2:3], off
	v_mov_b32_e32 v0, s4
	v_mov_b32_e32 v1, s5
	s_waitcnt vmcnt(0)
	global_atomic_cmpswap_x2 v[0:1], v12, v[0:3], s[2:3] offset:32 glc
	s_waitcnt vmcnt(0)
	v_cmp_eq_u64_e32 vcc, v[0:1], v[2:3]
	v_mov_b32_e32 v3, v1
	s_or_b64 s[10:11], vcc, s[10:11]
	v_mov_b32_e32 v2, v0
	s_andn2_b64 exec, exec, s[10:11]
	s_cbranch_execnz .LBB6_149
.LBB6_150:
	s_or_b64 exec, exec, s[8:9]
	v_mov_b32_e32 v3, 0
	global_load_dwordx2 v[0:1], v3, s[2:3] offset:16
	s_mov_b64 s[8:9], exec
	v_mbcnt_lo_u32_b32 v2, s8, 0
	v_mbcnt_hi_u32_b32 v2, s9, v2
	v_cmp_eq_u32_e32 vcc, 0, v2
	s_and_saveexec_b64 s[10:11], vcc
	s_cbranch_execz .LBB6_152
; %bb.151:
	s_bcnt1_i32_b64 s8, s[8:9]
	v_mov_b32_e32 v2, s8
	s_waitcnt vmcnt(0)
	global_atomic_add_x2 v[0:1], v[2:3], off offset:8
.LBB6_152:
	s_or_b64 exec, exec, s[10:11]
	s_waitcnt vmcnt(0)
	global_load_dwordx2 v[2:3], v[0:1], off offset:16
	s_waitcnt vmcnt(0)
	v_cmp_eq_u64_e32 vcc, 0, v[2:3]
	s_cbranch_vccnz .LBB6_154
; %bb.153:
	global_load_dword v0, v[0:1], off offset:24
	v_mov_b32_e32 v1, 0
	s_waitcnt vmcnt(0)
	v_readfirstlane_b32 s8, v0
	s_and_b32 m0, s8, 0xffffff
	global_store_dwordx2 v[2:3], v[0:1], off
	s_sendmsg sendmsg(MSG_INTERRUPT)
.LBB6_154:
	s_or_b64 exec, exec, s[6:7]
	s_branch .LBB6_158
.LBB6_155:                              ;   in Loop: Header=BB6_158 Depth=1
	s_or_b64 exec, exec, s[6:7]
	v_readfirstlane_b32 s6, v0
	s_cmp_eq_u32 s6, 0
	s_cbranch_scc1 .LBB6_157
; %bb.156:                              ;   in Loop: Header=BB6_158 Depth=1
	s_sleep 1
	s_cbranch_execnz .LBB6_158
	s_branch .LBB6_160
.LBB6_157:
	s_branch .LBB6_160
.LBB6_158:                              ; =>This Inner Loop Header: Depth=1
	v_mov_b32_e32 v0, 1
	s_and_saveexec_b64 s[6:7], s[0:1]
	s_cbranch_execz .LBB6_155
; %bb.159:                              ;   in Loop: Header=BB6_158 Depth=1
	global_load_dword v0, v[10:11], off offset:20 glc
	s_waitcnt vmcnt(0)
	buffer_wbinvl1_vol
	v_and_b32_e32 v0, 1, v0
	s_branch .LBB6_155
.LBB6_160:
	global_load_dwordx2 v[0:1], v[8:9], off
	s_and_saveexec_b64 s[6:7], s[0:1]
	s_cbranch_execz .LBB6_163
; %bb.161:
	v_mov_b32_e32 v8, 0
	global_load_dwordx2 v[2:3], v8, s[2:3] offset:40
	global_load_dwordx2 v[11:12], v8, s[2:3] offset:24 glc
	global_load_dwordx2 v[4:5], v8, s[2:3]
	s_waitcnt vmcnt(2)
	v_readfirstlane_b32 s8, v2
	v_readfirstlane_b32 s9, v3
	s_add_u32 s10, s8, 1
	s_addc_u32 s11, s9, 0
	s_add_u32 s0, s10, s4
	s_addc_u32 s1, s11, s5
	s_cmp_eq_u64 s[0:1], 0
	s_cselect_b32 s1, s11, s1
	s_cselect_b32 s0, s10, s0
	s_and_b64 s[4:5], s[0:1], s[8:9]
	s_mul_i32 s5, s5, 24
	s_mul_hi_u32 s8, s4, 24
	s_mul_i32 s4, s4, 24
	s_add_i32 s5, s8, s5
	v_mov_b32_e32 v2, s5
	s_waitcnt vmcnt(0)
	v_add_co_u32_e32 v6, vcc, s4, v4
	v_addc_co_u32_e32 v7, vcc, v5, v2, vcc
	v_mov_b32_e32 v9, s0
	global_store_dwordx2 v[6:7], v[11:12], off
	v_mov_b32_e32 v10, s1
	s_waitcnt vmcnt(0)
	global_atomic_cmpswap_x2 v[4:5], v8, v[9:12], s[2:3] offset:24 glc
	s_mov_b64 s[4:5], 0
	s_waitcnt vmcnt(0)
	v_cmp_ne_u64_e32 vcc, v[4:5], v[11:12]
	s_and_b64 exec, exec, vcc
	s_cbranch_execz .LBB6_163
.LBB6_162:                              ; =>This Inner Loop Header: Depth=1
	s_sleep 1
	global_store_dwordx2 v[6:7], v[4:5], off
	v_mov_b32_e32 v2, s0
	v_mov_b32_e32 v3, s1
	s_waitcnt vmcnt(0)
	global_atomic_cmpswap_x2 v[2:3], v8, v[2:5], s[2:3] offset:24 glc
	s_waitcnt vmcnt(0)
	v_cmp_eq_u64_e32 vcc, v[2:3], v[4:5]
	v_mov_b32_e32 v5, v3
	s_or_b64 s[4:5], vcc, s[4:5]
	v_mov_b32_e32 v4, v2
	s_andn2_b64 exec, exec, s[4:5]
	s_cbranch_execnz .LBB6_162
.LBB6_163:
	s_or_b64 exec, exec, s[6:7]
	v_readfirstlane_b32 s0, v30
	v_mov_b32_e32 v8, 0
	v_mov_b32_e32 v9, 0
	v_cmp_eq_u32_e64 s[0:1], s0, v30
	s_and_saveexec_b64 s[4:5], s[0:1]
	s_cbranch_execz .LBB6_169
; %bb.164:
	v_mov_b32_e32 v2, 0
	global_load_dwordx2 v[5:6], v2, s[2:3] offset:24 glc
	s_waitcnt vmcnt(0)
	buffer_wbinvl1_vol
	global_load_dwordx2 v[3:4], v2, s[2:3] offset:40
	global_load_dwordx2 v[7:8], v2, s[2:3]
	s_waitcnt vmcnt(1)
	v_and_b32_e32 v3, v3, v5
	v_and_b32_e32 v4, v4, v6
	v_mul_lo_u32 v4, v4, 24
	v_mul_hi_u32 v9, v3, 24
	v_mul_lo_u32 v3, v3, 24
	v_add_u32_e32 v4, v9, v4
	s_waitcnt vmcnt(0)
	v_add_co_u32_e32 v3, vcc, v7, v3
	v_addc_co_u32_e32 v4, vcc, v8, v4, vcc
	global_load_dwordx2 v[3:4], v[3:4], off glc
	s_waitcnt vmcnt(0)
	global_atomic_cmpswap_x2 v[8:9], v2, v[3:6], s[2:3] offset:24 glc
	s_waitcnt vmcnt(0)
	buffer_wbinvl1_vol
	v_cmp_ne_u64_e32 vcc, v[8:9], v[5:6]
	s_and_saveexec_b64 s[6:7], vcc
	s_cbranch_execz .LBB6_168
; %bb.165:
	s_mov_b64 s[8:9], 0
.LBB6_166:                              ; =>This Inner Loop Header: Depth=1
	s_sleep 1
	global_load_dwordx2 v[3:4], v2, s[2:3] offset:40
	global_load_dwordx2 v[10:11], v2, s[2:3]
	v_mov_b32_e32 v5, v8
	v_mov_b32_e32 v6, v9
	s_waitcnt vmcnt(1)
	v_and_b32_e32 v3, v3, v5
	s_waitcnt vmcnt(0)
	v_mad_u64_u32 v[7:8], s[10:11], v3, 24, v[10:11]
	v_and_b32_e32 v4, v4, v6
	v_mov_b32_e32 v3, v8
	v_mad_u64_u32 v[3:4], s[10:11], v4, 24, v[3:4]
	v_mov_b32_e32 v8, v3
	global_load_dwordx2 v[3:4], v[7:8], off glc
	s_waitcnt vmcnt(0)
	global_atomic_cmpswap_x2 v[8:9], v2, v[3:6], s[2:3] offset:24 glc
	s_waitcnt vmcnt(0)
	buffer_wbinvl1_vol
	v_cmp_eq_u64_e32 vcc, v[8:9], v[5:6]
	s_or_b64 s[8:9], vcc, s[8:9]
	s_andn2_b64 exec, exec, s[8:9]
	s_cbranch_execnz .LBB6_166
; %bb.167:
	s_or_b64 exec, exec, s[8:9]
.LBB6_168:
	s_or_b64 exec, exec, s[6:7]
.LBB6_169:
	s_or_b64 exec, exec, s[4:5]
	v_mov_b32_e32 v3, 0
	global_load_dwordx2 v[10:11], v3, s[2:3] offset:40
	global_load_dwordx4 v[4:7], v3, s[2:3]
	v_readfirstlane_b32 s5, v9
	v_readfirstlane_b32 s4, v8
	s_mov_b64 s[6:7], exec
	s_waitcnt vmcnt(1)
	v_readfirstlane_b32 s8, v10
	v_readfirstlane_b32 s9, v11
	s_and_b64 s[8:9], s[8:9], s[4:5]
	s_mul_i32 s10, s9, 24
	s_mul_hi_u32 s11, s8, 24
	s_mul_i32 s12, s8, 24
	s_add_i32 s10, s11, s10
	v_mov_b32_e32 v2, s10
	s_waitcnt vmcnt(0)
	v_add_co_u32_e32 v8, vcc, s12, v4
	v_addc_co_u32_e32 v9, vcc, v5, v2, vcc
	s_and_saveexec_b64 s[10:11], s[0:1]
	s_cbranch_execz .LBB6_171
; %bb.170:
	v_mov_b32_e32 v11, s7
	v_mov_b32_e32 v10, s6
	;; [unrolled: 1-line block ×4, first 2 shown]
	global_store_dwordx4 v[8:9], v[10:13], off offset:8
.LBB6_171:
	s_or_b64 exec, exec, s[10:11]
	s_lshl_b64 s[6:7], s[8:9], 12
	v_mov_b32_e32 v2, s7
	v_add_co_u32_e32 v10, vcc, s6, v6
	v_addc_co_u32_e32 v11, vcc, v7, v2, vcc
	s_movk_i32 s6, 0xff1f
	s_mov_b32 s8, 0
	v_and_or_b32 v0, v0, s6, 32
	v_mov_b32_e32 v2, s19
	v_readfirstlane_b32 s6, v10
	v_readfirstlane_b32 s7, v11
	v_add_co_u32_e32 v6, vcc, v10, v29
	s_mov_b32 s9, s8
	s_mov_b32 s10, s8
	;; [unrolled: 1-line block ×3, first 2 shown]
	s_nop 0
	global_store_dwordx4 v29, v[0:3], s[6:7]
	v_addc_co_u32_e32 v7, vcc, 0, v11, vcc
	v_mov_b32_e32 v0, s8
	v_mov_b32_e32 v1, s9
	;; [unrolled: 1-line block ×4, first 2 shown]
	global_store_dwordx4 v29, v[0:3], s[6:7] offset:16
	global_store_dwordx4 v29, v[0:3], s[6:7] offset:32
	;; [unrolled: 1-line block ×3, first 2 shown]
	s_and_saveexec_b64 s[6:7], s[0:1]
	s_cbranch_execz .LBB6_179
; %bb.172:
	v_mov_b32_e32 v10, 0
	global_load_dwordx2 v[13:14], v10, s[2:3] offset:32 glc
	global_load_dwordx2 v[0:1], v10, s[2:3] offset:40
	v_mov_b32_e32 v11, s4
	v_mov_b32_e32 v12, s5
	s_waitcnt vmcnt(0)
	v_readfirstlane_b32 s8, v0
	v_readfirstlane_b32 s9, v1
	s_and_b64 s[8:9], s[8:9], s[4:5]
	s_mul_i32 s9, s9, 24
	s_mul_hi_u32 s10, s8, 24
	s_mul_i32 s8, s8, 24
	s_add_i32 s9, s10, s9
	v_mov_b32_e32 v0, s9
	v_add_co_u32_e32 v4, vcc, s8, v4
	v_addc_co_u32_e32 v5, vcc, v5, v0, vcc
	global_store_dwordx2 v[4:5], v[13:14], off
	s_waitcnt vmcnt(0)
	global_atomic_cmpswap_x2 v[2:3], v10, v[11:14], s[2:3] offset:32 glc
	s_waitcnt vmcnt(0)
	v_cmp_ne_u64_e32 vcc, v[2:3], v[13:14]
	s_and_saveexec_b64 s[8:9], vcc
	s_cbranch_execz .LBB6_175
; %bb.173:
	s_mov_b64 s[10:11], 0
.LBB6_174:                              ; =>This Inner Loop Header: Depth=1
	s_sleep 1
	global_store_dwordx2 v[4:5], v[2:3], off
	v_mov_b32_e32 v0, s4
	v_mov_b32_e32 v1, s5
	s_waitcnt vmcnt(0)
	global_atomic_cmpswap_x2 v[0:1], v10, v[0:3], s[2:3] offset:32 glc
	s_waitcnt vmcnt(0)
	v_cmp_eq_u64_e32 vcc, v[0:1], v[2:3]
	v_mov_b32_e32 v3, v1
	s_or_b64 s[10:11], vcc, s[10:11]
	v_mov_b32_e32 v2, v0
	s_andn2_b64 exec, exec, s[10:11]
	s_cbranch_execnz .LBB6_174
.LBB6_175:
	s_or_b64 exec, exec, s[8:9]
	v_mov_b32_e32 v3, 0
	global_load_dwordx2 v[0:1], v3, s[2:3] offset:16
	s_mov_b64 s[8:9], exec
	v_mbcnt_lo_u32_b32 v2, s8, 0
	v_mbcnt_hi_u32_b32 v2, s9, v2
	v_cmp_eq_u32_e32 vcc, 0, v2
	s_and_saveexec_b64 s[10:11], vcc
	s_cbranch_execz .LBB6_177
; %bb.176:
	s_bcnt1_i32_b64 s8, s[8:9]
	v_mov_b32_e32 v2, s8
	s_waitcnt vmcnt(0)
	global_atomic_add_x2 v[0:1], v[2:3], off offset:8
.LBB6_177:
	s_or_b64 exec, exec, s[10:11]
	s_waitcnt vmcnt(0)
	global_load_dwordx2 v[2:3], v[0:1], off offset:16
	s_waitcnt vmcnt(0)
	v_cmp_eq_u64_e32 vcc, 0, v[2:3]
	s_cbranch_vccnz .LBB6_179
; %bb.178:
	global_load_dword v0, v[0:1], off offset:24
	v_mov_b32_e32 v1, 0
	s_waitcnt vmcnt(0)
	v_readfirstlane_b32 s8, v0
	s_and_b32 m0, s8, 0xffffff
	global_store_dwordx2 v[2:3], v[0:1], off
	s_sendmsg sendmsg(MSG_INTERRUPT)
.LBB6_179:
	s_or_b64 exec, exec, s[6:7]
	s_branch .LBB6_183
.LBB6_180:                              ;   in Loop: Header=BB6_183 Depth=1
	s_or_b64 exec, exec, s[6:7]
	v_readfirstlane_b32 s6, v0
	s_cmp_eq_u32 s6, 0
	s_cbranch_scc1 .LBB6_182
; %bb.181:                              ;   in Loop: Header=BB6_183 Depth=1
	s_sleep 1
	s_cbranch_execnz .LBB6_183
	s_branch .LBB6_185
.LBB6_182:
	s_branch .LBB6_185
.LBB6_183:                              ; =>This Inner Loop Header: Depth=1
	v_mov_b32_e32 v0, 1
	s_and_saveexec_b64 s[6:7], s[0:1]
	s_cbranch_execz .LBB6_180
; %bb.184:                              ;   in Loop: Header=BB6_183 Depth=1
	global_load_dword v0, v[8:9], off offset:20 glc
	s_waitcnt vmcnt(0)
	buffer_wbinvl1_vol
	v_and_b32_e32 v0, 1, v0
	s_branch .LBB6_180
.LBB6_185:
	global_load_dwordx2 v[0:1], v[6:7], off
	s_and_saveexec_b64 s[6:7], s[0:1]
	s_cbranch_execz .LBB6_188
; %bb.186:
	v_mov_b32_e32 v8, 0
	global_load_dwordx2 v[2:3], v8, s[2:3] offset:40
	global_load_dwordx2 v[11:12], v8, s[2:3] offset:24 glc
	global_load_dwordx2 v[4:5], v8, s[2:3]
	s_waitcnt vmcnt(2)
	v_readfirstlane_b32 s8, v2
	v_readfirstlane_b32 s9, v3
	s_add_u32 s10, s8, 1
	s_addc_u32 s11, s9, 0
	s_add_u32 s0, s10, s4
	s_addc_u32 s1, s11, s5
	s_cmp_eq_u64 s[0:1], 0
	s_cselect_b32 s1, s11, s1
	s_cselect_b32 s0, s10, s0
	s_and_b64 s[4:5], s[0:1], s[8:9]
	s_mul_i32 s5, s5, 24
	s_mul_hi_u32 s8, s4, 24
	s_mul_i32 s4, s4, 24
	s_add_i32 s5, s8, s5
	v_mov_b32_e32 v2, s5
	s_waitcnt vmcnt(0)
	v_add_co_u32_e32 v6, vcc, s4, v4
	v_addc_co_u32_e32 v7, vcc, v5, v2, vcc
	v_mov_b32_e32 v9, s0
	global_store_dwordx2 v[6:7], v[11:12], off
	v_mov_b32_e32 v10, s1
	s_waitcnt vmcnt(0)
	global_atomic_cmpswap_x2 v[4:5], v8, v[9:12], s[2:3] offset:24 glc
	s_mov_b64 s[4:5], 0
	s_waitcnt vmcnt(0)
	v_cmp_ne_u64_e32 vcc, v[4:5], v[11:12]
	s_and_b64 exec, exec, vcc
	s_cbranch_execz .LBB6_188
.LBB6_187:                              ; =>This Inner Loop Header: Depth=1
	s_sleep 1
	global_store_dwordx2 v[6:7], v[4:5], off
	v_mov_b32_e32 v2, s0
	v_mov_b32_e32 v3, s1
	s_waitcnt vmcnt(0)
	global_atomic_cmpswap_x2 v[2:3], v8, v[2:5], s[2:3] offset:24 glc
	s_waitcnt vmcnt(0)
	v_cmp_eq_u64_e32 vcc, v[2:3], v[4:5]
	v_mov_b32_e32 v5, v3
	s_or_b64 s[4:5], vcc, s[4:5]
	v_mov_b32_e32 v4, v2
	s_andn2_b64 exec, exec, s[4:5]
	s_cbranch_execnz .LBB6_187
.LBB6_188:
	s_or_b64 exec, exec, s[6:7]
	v_readfirstlane_b32 s0, v30
	v_mov_b32_e32 v8, 0
	v_mov_b32_e32 v9, 0
	v_cmp_eq_u32_e64 s[0:1], s0, v30
	s_and_saveexec_b64 s[4:5], s[0:1]
	s_cbranch_execz .LBB6_194
; %bb.189:
	v_mov_b32_e32 v2, 0
	global_load_dwordx2 v[5:6], v2, s[2:3] offset:24 glc
	s_waitcnt vmcnt(0)
	buffer_wbinvl1_vol
	global_load_dwordx2 v[3:4], v2, s[2:3] offset:40
	global_load_dwordx2 v[7:8], v2, s[2:3]
	s_waitcnt vmcnt(1)
	v_and_b32_e32 v3, v3, v5
	v_and_b32_e32 v4, v4, v6
	v_mul_lo_u32 v4, v4, 24
	v_mul_hi_u32 v9, v3, 24
	v_mul_lo_u32 v3, v3, 24
	v_add_u32_e32 v4, v9, v4
	s_waitcnt vmcnt(0)
	v_add_co_u32_e32 v3, vcc, v7, v3
	v_addc_co_u32_e32 v4, vcc, v8, v4, vcc
	global_load_dwordx2 v[3:4], v[3:4], off glc
	s_waitcnt vmcnt(0)
	global_atomic_cmpswap_x2 v[8:9], v2, v[3:6], s[2:3] offset:24 glc
	s_waitcnt vmcnt(0)
	buffer_wbinvl1_vol
	v_cmp_ne_u64_e32 vcc, v[8:9], v[5:6]
	s_and_saveexec_b64 s[6:7], vcc
	s_cbranch_execz .LBB6_193
; %bb.190:
	s_mov_b64 s[8:9], 0
.LBB6_191:                              ; =>This Inner Loop Header: Depth=1
	s_sleep 1
	global_load_dwordx2 v[3:4], v2, s[2:3] offset:40
	global_load_dwordx2 v[10:11], v2, s[2:3]
	v_mov_b32_e32 v5, v8
	v_mov_b32_e32 v6, v9
	s_waitcnt vmcnt(1)
	v_and_b32_e32 v3, v3, v5
	s_waitcnt vmcnt(0)
	v_mad_u64_u32 v[7:8], s[10:11], v3, 24, v[10:11]
	v_and_b32_e32 v4, v4, v6
	v_mov_b32_e32 v3, v8
	v_mad_u64_u32 v[3:4], s[10:11], v4, 24, v[3:4]
	v_mov_b32_e32 v8, v3
	global_load_dwordx2 v[3:4], v[7:8], off glc
	s_waitcnt vmcnt(0)
	global_atomic_cmpswap_x2 v[8:9], v2, v[3:6], s[2:3] offset:24 glc
	s_waitcnt vmcnt(0)
	buffer_wbinvl1_vol
	v_cmp_eq_u64_e32 vcc, v[8:9], v[5:6]
	s_or_b64 s[8:9], vcc, s[8:9]
	s_andn2_b64 exec, exec, s[8:9]
	s_cbranch_execnz .LBB6_191
; %bb.192:
	s_or_b64 exec, exec, s[8:9]
.LBB6_193:
	s_or_b64 exec, exec, s[6:7]
.LBB6_194:
	s_or_b64 exec, exec, s[4:5]
	v_mov_b32_e32 v3, 0
	global_load_dwordx2 v[10:11], v3, s[2:3] offset:40
	global_load_dwordx4 v[4:7], v3, s[2:3]
	v_readfirstlane_b32 s5, v9
	v_readfirstlane_b32 s4, v8
	s_mov_b64 s[6:7], exec
	s_waitcnt vmcnt(1)
	v_readfirstlane_b32 s8, v10
	v_readfirstlane_b32 s9, v11
	s_and_b64 s[8:9], s[8:9], s[4:5]
	s_mul_i32 s10, s9, 24
	s_mul_hi_u32 s11, s8, 24
	s_mul_i32 s12, s8, 24
	s_add_i32 s10, s11, s10
	v_mov_b32_e32 v2, s10
	s_waitcnt vmcnt(0)
	v_add_co_u32_e32 v8, vcc, s12, v4
	v_addc_co_u32_e32 v9, vcc, v5, v2, vcc
	s_and_saveexec_b64 s[10:11], s[0:1]
	s_cbranch_execz .LBB6_196
; %bb.195:
	v_mov_b32_e32 v11, s7
	v_mov_b32_e32 v10, s6
	;; [unrolled: 1-line block ×4, first 2 shown]
	global_store_dwordx4 v[8:9], v[10:13], off offset:8
.LBB6_196:
	s_or_b64 exec, exec, s[10:11]
	s_lshl_b64 s[6:7], s[8:9], 12
	v_mov_b32_e32 v2, s7
	v_add_co_u32_e32 v6, vcc, s6, v6
	v_addc_co_u32_e32 v7, vcc, v7, v2, vcc
	s_movk_i32 s6, 0xff1d
	s_mov_b32 s8, 0
	v_and_or_b32 v0, v0, s6, 34
	v_mov_b32_e32 v2, s18
	v_readfirstlane_b32 s6, v6
	v_readfirstlane_b32 s7, v7
	s_mov_b32 s9, s8
	s_mov_b32 s10, s8
	;; [unrolled: 1-line block ×3, first 2 shown]
	s_nop 1
	global_store_dwordx4 v29, v[0:3], s[6:7]
	s_nop 0
	v_mov_b32_e32 v0, s8
	v_mov_b32_e32 v1, s9
	;; [unrolled: 1-line block ×4, first 2 shown]
	global_store_dwordx4 v29, v[0:3], s[6:7] offset:16
	global_store_dwordx4 v29, v[0:3], s[6:7] offset:32
	;; [unrolled: 1-line block ×3, first 2 shown]
	s_and_saveexec_b64 s[6:7], s[0:1]
	s_cbranch_execz .LBB6_204
; %bb.197:
	v_mov_b32_e32 v6, 0
	global_load_dwordx2 v[12:13], v6, s[2:3] offset:32 glc
	global_load_dwordx2 v[0:1], v6, s[2:3] offset:40
	v_mov_b32_e32 v10, s4
	v_mov_b32_e32 v11, s5
	s_waitcnt vmcnt(0)
	v_readfirstlane_b32 s8, v0
	v_readfirstlane_b32 s9, v1
	s_and_b64 s[8:9], s[8:9], s[4:5]
	s_mul_i32 s9, s9, 24
	s_mul_hi_u32 s10, s8, 24
	s_mul_i32 s8, s8, 24
	s_add_i32 s9, s10, s9
	v_mov_b32_e32 v0, s9
	v_add_co_u32_e32 v4, vcc, s8, v4
	v_addc_co_u32_e32 v5, vcc, v5, v0, vcc
	global_store_dwordx2 v[4:5], v[12:13], off
	s_waitcnt vmcnt(0)
	global_atomic_cmpswap_x2 v[2:3], v6, v[10:13], s[2:3] offset:32 glc
	s_waitcnt vmcnt(0)
	v_cmp_ne_u64_e32 vcc, v[2:3], v[12:13]
	s_and_saveexec_b64 s[8:9], vcc
	s_cbranch_execz .LBB6_200
; %bb.198:
	s_mov_b64 s[10:11], 0
.LBB6_199:                              ; =>This Inner Loop Header: Depth=1
	s_sleep 1
	global_store_dwordx2 v[4:5], v[2:3], off
	v_mov_b32_e32 v0, s4
	v_mov_b32_e32 v1, s5
	s_waitcnt vmcnt(0)
	global_atomic_cmpswap_x2 v[0:1], v6, v[0:3], s[2:3] offset:32 glc
	s_waitcnt vmcnt(0)
	v_cmp_eq_u64_e32 vcc, v[0:1], v[2:3]
	v_mov_b32_e32 v3, v1
	s_or_b64 s[10:11], vcc, s[10:11]
	v_mov_b32_e32 v2, v0
	s_andn2_b64 exec, exec, s[10:11]
	s_cbranch_execnz .LBB6_199
.LBB6_200:
	s_or_b64 exec, exec, s[8:9]
	v_mov_b32_e32 v3, 0
	global_load_dwordx2 v[0:1], v3, s[2:3] offset:16
	s_mov_b64 s[8:9], exec
	v_mbcnt_lo_u32_b32 v2, s8, 0
	v_mbcnt_hi_u32_b32 v2, s9, v2
	v_cmp_eq_u32_e32 vcc, 0, v2
	s_and_saveexec_b64 s[10:11], vcc
	s_cbranch_execz .LBB6_202
; %bb.201:
	s_bcnt1_i32_b64 s8, s[8:9]
	v_mov_b32_e32 v2, s8
	s_waitcnt vmcnt(0)
	global_atomic_add_x2 v[0:1], v[2:3], off offset:8
.LBB6_202:
	s_or_b64 exec, exec, s[10:11]
	s_waitcnt vmcnt(0)
	global_load_dwordx2 v[2:3], v[0:1], off offset:16
	s_waitcnt vmcnt(0)
	v_cmp_eq_u64_e32 vcc, 0, v[2:3]
	s_cbranch_vccnz .LBB6_204
; %bb.203:
	global_load_dword v0, v[0:1], off offset:24
	v_mov_b32_e32 v1, 0
	s_waitcnt vmcnt(0)
	v_readfirstlane_b32 s8, v0
	s_and_b32 m0, s8, 0xffffff
	global_store_dwordx2 v[2:3], v[0:1], off
	s_sendmsg sendmsg(MSG_INTERRUPT)
.LBB6_204:
	s_or_b64 exec, exec, s[6:7]
	s_branch .LBB6_208
.LBB6_205:                              ;   in Loop: Header=BB6_208 Depth=1
	s_or_b64 exec, exec, s[6:7]
	v_readfirstlane_b32 s6, v0
	s_cmp_eq_u32 s6, 0
	s_cbranch_scc1 .LBB6_207
; %bb.206:                              ;   in Loop: Header=BB6_208 Depth=1
	s_sleep 1
	s_cbranch_execnz .LBB6_208
	s_branch .LBB6_210
.LBB6_207:
	s_branch .LBB6_210
.LBB6_208:                              ; =>This Inner Loop Header: Depth=1
	v_mov_b32_e32 v0, 1
	s_and_saveexec_b64 s[6:7], s[0:1]
	s_cbranch_execz .LBB6_205
; %bb.209:                              ;   in Loop: Header=BB6_208 Depth=1
	global_load_dword v0, v[8:9], off offset:20 glc
	s_waitcnt vmcnt(0)
	buffer_wbinvl1_vol
	v_and_b32_e32 v0, 1, v0
	s_branch .LBB6_205
.LBB6_210:
	s_and_saveexec_b64 s[6:7], s[0:1]
	s_cbranch_execz .LBB6_213
; %bb.211:
	v_mov_b32_e32 v6, 0
	global_load_dwordx2 v[0:1], v6, s[2:3] offset:40
	global_load_dwordx2 v[9:10], v6, s[2:3] offset:24 glc
	global_load_dwordx2 v[2:3], v6, s[2:3]
	s_waitcnt vmcnt(2)
	v_readfirstlane_b32 s6, v0
	v_readfirstlane_b32 s7, v1
	s_add_u32 s8, s6, 1
	s_addc_u32 s9, s7, 0
	s_add_u32 s0, s8, s4
	s_addc_u32 s1, s9, s5
	s_cmp_eq_u64 s[0:1], 0
	s_cselect_b32 s1, s9, s1
	s_cselect_b32 s0, s8, s0
	s_and_b64 s[4:5], s[0:1], s[6:7]
	s_mul_i32 s5, s5, 24
	s_mul_hi_u32 s6, s4, 24
	s_mul_i32 s4, s4, 24
	s_add_i32 s5, s6, s5
	v_mov_b32_e32 v0, s5
	s_waitcnt vmcnt(0)
	v_add_co_u32_e32 v4, vcc, s4, v2
	v_addc_co_u32_e32 v5, vcc, v3, v0, vcc
	v_mov_b32_e32 v7, s0
	global_store_dwordx2 v[4:5], v[9:10], off
	v_mov_b32_e32 v8, s1
	s_waitcnt vmcnt(0)
	global_atomic_cmpswap_x2 v[2:3], v6, v[7:10], s[2:3] offset:24 glc
	s_mov_b64 s[4:5], 0
	s_waitcnt vmcnt(0)
	v_cmp_ne_u64_e32 vcc, v[2:3], v[9:10]
	s_and_b64 exec, exec, vcc
	s_cbranch_execz .LBB6_213
.LBB6_212:                              ; =>This Inner Loop Header: Depth=1
	s_sleep 1
	global_store_dwordx2 v[4:5], v[2:3], off
	v_mov_b32_e32 v0, s0
	v_mov_b32_e32 v1, s1
	s_waitcnt vmcnt(0)
	global_atomic_cmpswap_x2 v[0:1], v6, v[0:3], s[2:3] offset:24 glc
	s_waitcnt vmcnt(0)
	v_cmp_eq_u64_e32 vcc, v[0:1], v[2:3]
	v_mov_b32_e32 v3, v1
	s_or_b64 s[4:5], vcc, s[4:5]
	v_mov_b32_e32 v2, v0
	s_andn2_b64 exec, exec, s[4:5]
	s_cbranch_execnz .LBB6_212
.LBB6_213:
	s_endpgm
	.section	.rodata,"a",@progbits
	.p2align	6, 0x0
	.amdhsa_kernel _Z16printStatsKernelPKiS0_S0_
		.amdhsa_group_segment_fixed_size 0
		.amdhsa_private_segment_fixed_size 0
		.amdhsa_kernarg_size 280
		.amdhsa_user_sgpr_count 6
		.amdhsa_user_sgpr_private_segment_buffer 1
		.amdhsa_user_sgpr_dispatch_ptr 0
		.amdhsa_user_sgpr_queue_ptr 0
		.amdhsa_user_sgpr_kernarg_segment_ptr 1
		.amdhsa_user_sgpr_dispatch_id 0
		.amdhsa_user_sgpr_flat_scratch_init 0
		.amdhsa_user_sgpr_private_segment_size 0
		.amdhsa_uses_dynamic_stack 0
		.amdhsa_system_sgpr_private_segment_wavefront_offset 0
		.amdhsa_system_sgpr_workgroup_id_x 1
		.amdhsa_system_sgpr_workgroup_id_y 0
		.amdhsa_system_sgpr_workgroup_id_z 0
		.amdhsa_system_sgpr_workgroup_info 0
		.amdhsa_system_vgpr_workitem_id 0
		.amdhsa_next_free_vgpr 33
		.amdhsa_next_free_sgpr 22
		.amdhsa_reserve_vcc 1
		.amdhsa_reserve_flat_scratch 0
		.amdhsa_float_round_mode_32 0
		.amdhsa_float_round_mode_16_64 0
		.amdhsa_float_denorm_mode_32 3
		.amdhsa_float_denorm_mode_16_64 3
		.amdhsa_dx10_clamp 1
		.amdhsa_ieee_mode 1
		.amdhsa_fp16_overflow 0
		.amdhsa_exception_fp_ieee_invalid_op 0
		.amdhsa_exception_fp_denorm_src 0
		.amdhsa_exception_fp_ieee_div_zero 0
		.amdhsa_exception_fp_ieee_overflow 0
		.amdhsa_exception_fp_ieee_underflow 0
		.amdhsa_exception_fp_ieee_inexact 0
		.amdhsa_exception_int_div_zero 0
	.end_amdhsa_kernel
	.text
.Lfunc_end6:
	.size	_Z16printStatsKernelPKiS0_S0_, .Lfunc_end6-_Z16printStatsKernelPKiS0_S0_
                                        ; -- End function
	.set _Z16printStatsKernelPKiS0_S0_.num_vgpr, 33
	.set _Z16printStatsKernelPKiS0_S0_.num_agpr, 0
	.set _Z16printStatsKernelPKiS0_S0_.numbered_sgpr, 22
	.set _Z16printStatsKernelPKiS0_S0_.num_named_barrier, 0
	.set _Z16printStatsKernelPKiS0_S0_.private_seg_size, 0
	.set _Z16printStatsKernelPKiS0_S0_.uses_vcc, 1
	.set _Z16printStatsKernelPKiS0_S0_.uses_flat_scratch, 0
	.set _Z16printStatsKernelPKiS0_S0_.has_dyn_sized_stack, 0
	.set _Z16printStatsKernelPKiS0_S0_.has_recursion, 0
	.set _Z16printStatsKernelPKiS0_S0_.has_indirect_call, 0
	.section	.AMDGPU.csdata,"",@progbits
; Kernel info:
; codeLenInByte = 8128
; TotalNumSgprs: 26
; NumVgprs: 33
; ScratchSize: 0
; MemoryBound: 0
; FloatMode: 240
; IeeeMode: 1
; LDSByteSize: 0 bytes/workgroup (compile time only)
; SGPRBlocks: 3
; VGPRBlocks: 8
; NumSGPRsForWavesPerEU: 26
; NumVGPRsForWavesPerEU: 33
; Occupancy: 7
; WaveLimiterHint : 1
; COMPUTE_PGM_RSRC2:SCRATCH_EN: 0
; COMPUTE_PGM_RSRC2:USER_SGPR: 6
; COMPUTE_PGM_RSRC2:TRAP_HANDLER: 0
; COMPUTE_PGM_RSRC2:TGID_X_EN: 1
; COMPUTE_PGM_RSRC2:TGID_Y_EN: 0
; COMPUTE_PGM_RSRC2:TGID_Z_EN: 0
; COMPUTE_PGM_RSRC2:TIDIG_COMP_CNT: 0
	.text
	.protected	_Z17updateDeviceStatsiiPiS_ ; -- Begin function _Z17updateDeviceStatsiiPiS_
	.globl	_Z17updateDeviceStatsiiPiS_
	.p2align	8
	.type	_Z17updateDeviceStatsiiPiS_,@function
_Z17updateDeviceStatsiiPiS_:            ; @_Z17updateDeviceStatsiiPiS_
; %bb.0:
	s_load_dword s0, s[4:5], 0x24
	v_sub_u32_e32 v0, 0, v0
	s_waitcnt lgkmcnt(0)
	s_and_b32 s0, s0, 0xffff
	s_mul_i32 s6, s6, s0
	v_cmp_eq_u32_e32 vcc, s6, v0
	s_and_saveexec_b64 s[0:1], vcc
	s_cbranch_execz .LBB7_2
; %bb.1:
	s_load_dwordx2 s[6:7], s[4:5], 0x0
	s_load_dwordx4 s[0:3], s[4:5], 0x8
	v_mov_b32_e32 v0, 0
	s_waitcnt lgkmcnt(0)
	s_add_i32 s4, s6, s7
	v_mov_b32_e32 v1, s6
	s_add_i32 s4, s4, 1
	global_store_dword v0, v1, s[0:1]
	v_mov_b32_e32 v1, s4
	global_store_dword v0, v1, s[2:3]
.LBB7_2:
	s_endpgm
	.section	.rodata,"a",@progbits
	.p2align	6, 0x0
	.amdhsa_kernel _Z17updateDeviceStatsiiPiS_
		.amdhsa_group_segment_fixed_size 0
		.amdhsa_private_segment_fixed_size 0
		.amdhsa_kernarg_size 280
		.amdhsa_user_sgpr_count 6
		.amdhsa_user_sgpr_private_segment_buffer 1
		.amdhsa_user_sgpr_dispatch_ptr 0
		.amdhsa_user_sgpr_queue_ptr 0
		.amdhsa_user_sgpr_kernarg_segment_ptr 1
		.amdhsa_user_sgpr_dispatch_id 0
		.amdhsa_user_sgpr_flat_scratch_init 0
		.amdhsa_user_sgpr_private_segment_size 0
		.amdhsa_uses_dynamic_stack 0
		.amdhsa_system_sgpr_private_segment_wavefront_offset 0
		.amdhsa_system_sgpr_workgroup_id_x 1
		.amdhsa_system_sgpr_workgroup_id_y 0
		.amdhsa_system_sgpr_workgroup_id_z 0
		.amdhsa_system_sgpr_workgroup_info 0
		.amdhsa_system_vgpr_workitem_id 0
		.amdhsa_next_free_vgpr 2
		.amdhsa_next_free_sgpr 8
		.amdhsa_reserve_vcc 1
		.amdhsa_reserve_flat_scratch 0
		.amdhsa_float_round_mode_32 0
		.amdhsa_float_round_mode_16_64 0
		.amdhsa_float_denorm_mode_32 3
		.amdhsa_float_denorm_mode_16_64 3
		.amdhsa_dx10_clamp 1
		.amdhsa_ieee_mode 1
		.amdhsa_fp16_overflow 0
		.amdhsa_exception_fp_ieee_invalid_op 0
		.amdhsa_exception_fp_denorm_src 0
		.amdhsa_exception_fp_ieee_div_zero 0
		.amdhsa_exception_fp_ieee_overflow 0
		.amdhsa_exception_fp_ieee_underflow 0
		.amdhsa_exception_fp_ieee_inexact 0
		.amdhsa_exception_int_div_zero 0
	.end_amdhsa_kernel
	.text
.Lfunc_end7:
	.size	_Z17updateDeviceStatsiiPiS_, .Lfunc_end7-_Z17updateDeviceStatsiiPiS_
                                        ; -- End function
	.set _Z17updateDeviceStatsiiPiS_.num_vgpr, 2
	.set _Z17updateDeviceStatsiiPiS_.num_agpr, 0
	.set _Z17updateDeviceStatsiiPiS_.numbered_sgpr, 8
	.set _Z17updateDeviceStatsiiPiS_.num_named_barrier, 0
	.set _Z17updateDeviceStatsiiPiS_.private_seg_size, 0
	.set _Z17updateDeviceStatsiiPiS_.uses_vcc, 1
	.set _Z17updateDeviceStatsiiPiS_.uses_flat_scratch, 0
	.set _Z17updateDeviceStatsiiPiS_.has_dyn_sized_stack, 0
	.set _Z17updateDeviceStatsiiPiS_.has_recursion, 0
	.set _Z17updateDeviceStatsiiPiS_.has_indirect_call, 0
	.section	.AMDGPU.csdata,"",@progbits
; Kernel info:
; codeLenInByte = 100
; TotalNumSgprs: 12
; NumVgprs: 2
; ScratchSize: 0
; MemoryBound: 0
; FloatMode: 240
; IeeeMode: 1
; LDSByteSize: 0 bytes/workgroup (compile time only)
; SGPRBlocks: 1
; VGPRBlocks: 0
; NumSGPRsForWavesPerEU: 12
; NumVGPRsForWavesPerEU: 2
; Occupancy: 10
; WaveLimiterHint : 0
; COMPUTE_PGM_RSRC2:SCRATCH_EN: 0
; COMPUTE_PGM_RSRC2:USER_SGPR: 6
; COMPUTE_PGM_RSRC2:TRAP_HANDLER: 0
; COMPUTE_PGM_RSRC2:TGID_X_EN: 1
; COMPUTE_PGM_RSRC2:TGID_Y_EN: 0
; COMPUTE_PGM_RSRC2:TGID_Z_EN: 0
; COMPUTE_PGM_RSRC2:TIDIG_COMP_CNT: 0
	.section	.AMDGPU.gpr_maximums,"",@progbits
	.set amdgpu.max_num_vgpr, 37
	.set amdgpu.max_num_agpr, 0
	.set amdgpu.max_num_sgpr, 32
	.section	.AMDGPU.csdata,"",@progbits
	.type	.str,@object                    ; @.str
	.section	.rodata.str1.1,"aMS",@progbits,1
.str:
	.asciz	"-------Original AIG Device-------\n"
	.size	.str, 35

	.type	.str.1,@object                  ; @.str.1
.str.1:
	.asciz	"id\tfanin0\tfanin1\tnumFanouts\n"
	.size	.str.1, 29

	.type	.str.2,@object                  ; @.str.2
.str.2:
	.asciz	"%d\t"
	.size	.str.2, 4

	.type	.str.3,@object                  ; @.str.3
.str.3:
	.asciz	"%s%d\t"
	.size	.str.3, 6

	.type	.str.4,@object                  ; @.str.4
.str.4:
	.asciz	"!"
	.size	.str.4, 2

	.type	.str.5,@object                  ; @.str.5
.str.5:
	.zero	1
	.size	.str.5, 1

	.type	.str.6,@object                  ; @.str.6
.str.6:
	.asciz	"\t"
	.size	.str.6, 2

	.type	.str.7,@object                  ; @.str.7
.str.7:
	.asciz	"%d"
	.size	.str.7, 3

	.type	.str.8,@object                  ; @.str.8
.str.8:
	.asciz	"\n"
	.size	.str.8, 2

	.type	.str.9,@object                  ; @.str.9
.str.9:
	.asciz	"%s%d\n"
	.size	.str.9, 6

	.type	.str.10,@object                 ; @.str.10
.str.10:
	.asciz	"nObjs: %d, nPIs: %d, nPOs:%d, nNodes: %d\n"
	.size	.str.10, 42

	.type	.str.11,@object                 ; @.str.11
.str.11:
	.asciz	"AIG stats: i/o = %d/%d and = %d"
	.size	.str.11, 32

	.type	__hip_cuid_a6ee5bacb83bc919,@object ; @__hip_cuid_a6ee5bacb83bc919
	.section	.bss,"aw",@nobits
	.globl	__hip_cuid_a6ee5bacb83bc919
__hip_cuid_a6ee5bacb83bc919:
	.byte	0                               ; 0x0
	.size	__hip_cuid_a6ee5bacb83bc919, 1

	.ident	"AMD clang version 22.0.0git (https://github.com/RadeonOpenCompute/llvm-project roc-7.2.4 26084 f58b06dce1f9c15707c5f808fd002e18c2accf7e)"
	.section	".note.GNU-stack","",@progbits
	.addrsig
	.addrsig_sym __hip_cuid_a6ee5bacb83bc919
	.amdgpu_metadata
---
amdhsa.kernels:
  - .args:
      - .address_space:  global
        .offset:         0
        .size:           8
        .value_kind:     global_buffer
      - .address_space:  global
        .offset:         8
        .size:           8
        .value_kind:     global_buffer
      - .address_space:  global
        .offset:         16
        .size:           8
        .value_kind:     global_buffer
      - .offset:         24
        .size:           4
        .value_kind:     by_value
      - .offset:         28
        .size:           4
        .value_kind:     by_value
      - .offset:         32
        .size:           4
        .value_kind:     hidden_block_count_x
      - .offset:         36
        .size:           4
        .value_kind:     hidden_block_count_y
      - .offset:         40
        .size:           4
        .value_kind:     hidden_block_count_z
      - .offset:         44
        .size:           2
        .value_kind:     hidden_group_size_x
      - .offset:         46
        .size:           2
        .value_kind:     hidden_group_size_y
      - .offset:         48
        .size:           2
        .value_kind:     hidden_group_size_z
      - .offset:         50
        .size:           2
        .value_kind:     hidden_remainder_x
      - .offset:         52
        .size:           2
        .value_kind:     hidden_remainder_y
      - .offset:         54
        .size:           2
        .value_kind:     hidden_remainder_z
      - .offset:         72
        .size:           8
        .value_kind:     hidden_global_offset_x
      - .offset:         80
        .size:           8
        .value_kind:     hidden_global_offset_y
      - .offset:         88
        .size:           8
        .value_kind:     hidden_global_offset_z
      - .offset:         96
        .size:           2
        .value_kind:     hidden_grid_dims
    .group_segment_fixed_size: 0
    .kernarg_segment_align: 8
    .kernarg_segment_size: 288
    .language:       OpenCL C
    .language_version:
      - 2
      - 0
    .max_flat_workgroup_size: 1024
    .name:           _Z18processRwmanFaninsPiS_S_ii
    .private_segment_fixed_size: 0
    .sgpr_count:     14
    .sgpr_spill_count: 0
    .symbol:         _Z18processRwmanFaninsPiS_S_ii.kd
    .uniform_work_group_size: 1
    .uses_dynamic_stack: false
    .vgpr_count:     6
    .vgpr_spill_count: 0
    .wavefront_size: 64
  - .args:
      - .address_space:  global
        .offset:         0
        .size:           8
        .value_kind:     global_buffer
      - .address_space:  global
        .offset:         8
        .size:           8
        .value_kind:     global_buffer
      - .offset:         16
        .size:           4
        .value_kind:     by_value
      - .offset:         24
        .size:           4
        .value_kind:     hidden_block_count_x
      - .offset:         28
        .size:           4
        .value_kind:     hidden_block_count_y
      - .offset:         32
        .size:           4
        .value_kind:     hidden_block_count_z
      - .offset:         36
        .size:           2
        .value_kind:     hidden_group_size_x
      - .offset:         38
        .size:           2
        .value_kind:     hidden_group_size_y
      - .offset:         40
        .size:           2
        .value_kind:     hidden_group_size_z
      - .offset:         42
        .size:           2
        .value_kind:     hidden_remainder_x
      - .offset:         44
        .size:           2
        .value_kind:     hidden_remainder_y
      - .offset:         46
        .size:           2
        .value_kind:     hidden_remainder_z
      - .offset:         64
        .size:           8
        .value_kind:     hidden_global_offset_x
      - .offset:         72
        .size:           8
        .value_kind:     hidden_global_offset_y
      - .offset:         80
        .size:           8
        .value_kind:     hidden_global_offset_z
      - .offset:         88
        .size:           2
        .value_kind:     hidden_grid_dims
    .group_segment_fixed_size: 0
    .kernarg_segment_align: 8
    .kernarg_segment_size: 280
    .language:       OpenCL C
    .language_version:
      - 2
      - 0
    .max_flat_workgroup_size: 1024
    .name:           _Z16processRwmanOutsPiS_i
    .private_segment_fixed_size: 0
    .sgpr_count:     11
    .sgpr_spill_count: 0
    .symbol:         _Z16processRwmanOutsPiS_i.kd
    .uniform_work_group_size: 1
    .uses_dynamic_stack: false
    .vgpr_count:     4
    .vgpr_spill_count: 0
    .wavefront_size: 64
  - .args:
      - .address_space:  global
        .offset:         0
        .size:           8
        .value_kind:     global_buffer
      - .address_space:  global
        .offset:         8
        .size:           8
        .value_kind:     global_buffer
      - .address_space:  global
        .offset:         16
        .size:           8
        .value_kind:     global_buffer
      - .address_space:  global
        .offset:         24
        .size:           8
        .value_kind:     global_buffer
      - .address_space:  global
        .offset:         32
        .size:           8
        .value_kind:     global_buffer
      - .address_space:  global
        .offset:         40
        .size:           8
        .value_kind:     global_buffer
      - .address_space:  global
        .offset:         48
        .size:           8
        .value_kind:     global_buffer
      - .address_space:  global
        .offset:         56
        .size:           8
        .value_kind:     global_buffer
      - .address_space:  global
        .offset:         64
        .size:           8
        .value_kind:     global_buffer
      - .offset:         72
        .size:           4
        .value_kind:     hidden_block_count_x
      - .offset:         76
        .size:           4
        .value_kind:     hidden_block_count_y
      - .offset:         80
        .size:           4
        .value_kind:     hidden_block_count_z
      - .offset:         84
        .size:           2
        .value_kind:     hidden_group_size_x
      - .offset:         86
        .size:           2
        .value_kind:     hidden_group_size_y
      - .offset:         88
        .size:           2
        .value_kind:     hidden_group_size_z
      - .offset:         90
        .size:           2
        .value_kind:     hidden_remainder_x
      - .offset:         92
        .size:           2
        .value_kind:     hidden_remainder_y
      - .offset:         94
        .size:           2
        .value_kind:     hidden_remainder_z
      - .offset:         112
        .size:           8
        .value_kind:     hidden_global_offset_x
      - .offset:         120
        .size:           8
        .value_kind:     hidden_global_offset_y
      - .offset:         128
        .size:           8
        .value_kind:     hidden_global_offset_z
      - .offset:         136
        .size:           2
        .value_kind:     hidden_grid_dims
      - .offset:         152
        .size:           8
        .value_kind:     hidden_hostcall_buffer
    .group_segment_fixed_size: 0
    .kernarg_segment_align: 8
    .kernarg_segment_size: 328
    .language:       OpenCL C
    .language_version:
      - 2
      - 0
    .max_flat_workgroup_size: 1024
    .name:           _Z16showDeviceKernelPiS_S_S_S_S_S_S_S_
    .private_segment_fixed_size: 0
    .sgpr_count:     67
    .sgpr_spill_count: 0
    .symbol:         _Z16showDeviceKernelPiS_S_S_S_S_S_S_S_.kd
    .uniform_work_group_size: 1
    .uses_dynamic_stack: false
    .vgpr_count:     46
    .vgpr_spill_count: 0
    .wavefront_size: 64
  - .args:
      - .address_space:  global
        .offset:         0
        .size:           8
        .value_kind:     global_buffer
      - .address_space:  global
        .offset:         8
        .size:           8
        .value_kind:     global_buffer
      - .address_space:  global
        .offset:         16
        .size:           8
        .value_kind:     global_buffer
      - .offset:         24
        .size:           4
        .value_kind:     hidden_block_count_x
      - .offset:         28
        .size:           4
        .value_kind:     hidden_block_count_y
      - .offset:         32
        .size:           4
        .value_kind:     hidden_block_count_z
      - .offset:         36
        .size:           2
        .value_kind:     hidden_group_size_x
      - .offset:         38
        .size:           2
        .value_kind:     hidden_group_size_y
      - .offset:         40
        .size:           2
        .value_kind:     hidden_group_size_z
      - .offset:         42
        .size:           2
        .value_kind:     hidden_remainder_x
      - .offset:         44
        .size:           2
        .value_kind:     hidden_remainder_y
      - .offset:         46
        .size:           2
        .value_kind:     hidden_remainder_z
      - .offset:         64
        .size:           8
        .value_kind:     hidden_global_offset_x
      - .offset:         72
        .size:           8
        .value_kind:     hidden_global_offset_y
      - .offset:         80
        .size:           8
        .value_kind:     hidden_global_offset_z
      - .offset:         88
        .size:           2
        .value_kind:     hidden_grid_dims
      - .offset:         104
        .size:           8
        .value_kind:     hidden_hostcall_buffer
    .group_segment_fixed_size: 0
    .kernarg_segment_align: 8
    .kernarg_segment_size: 280
    .language:       OpenCL C
    .language_version:
      - 2
      - 0
    .max_flat_workgroup_size: 1024
    .name:           _Z16printStatsKernelPKiS0_S0_
    .private_segment_fixed_size: 0
    .sgpr_count:     26
    .sgpr_spill_count: 0
    .symbol:         _Z16printStatsKernelPKiS0_S0_.kd
    .uniform_work_group_size: 1
    .uses_dynamic_stack: false
    .vgpr_count:     33
    .vgpr_spill_count: 0
    .wavefront_size: 64
  - .args:
      - .offset:         0
        .size:           4
        .value_kind:     by_value
      - .offset:         4
        .size:           4
        .value_kind:     by_value
      - .address_space:  global
        .offset:         8
        .size:           8
        .value_kind:     global_buffer
      - .address_space:  global
        .offset:         16
        .size:           8
        .value_kind:     global_buffer
      - .offset:         24
        .size:           4
        .value_kind:     hidden_block_count_x
      - .offset:         28
        .size:           4
        .value_kind:     hidden_block_count_y
      - .offset:         32
        .size:           4
        .value_kind:     hidden_block_count_z
      - .offset:         36
        .size:           2
        .value_kind:     hidden_group_size_x
      - .offset:         38
        .size:           2
        .value_kind:     hidden_group_size_y
      - .offset:         40
        .size:           2
        .value_kind:     hidden_group_size_z
      - .offset:         42
        .size:           2
        .value_kind:     hidden_remainder_x
      - .offset:         44
        .size:           2
        .value_kind:     hidden_remainder_y
      - .offset:         46
        .size:           2
        .value_kind:     hidden_remainder_z
      - .offset:         64
        .size:           8
        .value_kind:     hidden_global_offset_x
      - .offset:         72
        .size:           8
        .value_kind:     hidden_global_offset_y
      - .offset:         80
        .size:           8
        .value_kind:     hidden_global_offset_z
      - .offset:         88
        .size:           2
        .value_kind:     hidden_grid_dims
    .group_segment_fixed_size: 0
    .kernarg_segment_align: 8
    .kernarg_segment_size: 280
    .language:       OpenCL C
    .language_version:
      - 2
      - 0
    .max_flat_workgroup_size: 1024
    .name:           _Z17updateDeviceStatsiiPiS_
    .private_segment_fixed_size: 0
    .sgpr_count:     12
    .sgpr_spill_count: 0
    .symbol:         _Z17updateDeviceStatsiiPiS_.kd
    .uniform_work_group_size: 1
    .uses_dynamic_stack: false
    .vgpr_count:     2
    .vgpr_spill_count: 0
    .wavefront_size: 64
amdhsa.target:   amdgcn-amd-amdhsa--gfx906
amdhsa.version:
  - 1
  - 2
...

	.end_amdgpu_metadata
